;; amdgpu-corpus repo=ROCm/rocFFT kind=compiled arch=gfx1030 opt=O3
	.text
	.amdgcn_target "amdgcn-amd-amdhsa--gfx1030"
	.amdhsa_code_object_version 6
	.protected	fft_rtc_back_len1377_factors_17_3_9_3_wgs_51_tpt_51_halfLds_dp_op_CI_CI_unitstride_sbrr_dirReg ; -- Begin function fft_rtc_back_len1377_factors_17_3_9_3_wgs_51_tpt_51_halfLds_dp_op_CI_CI_unitstride_sbrr_dirReg
	.globl	fft_rtc_back_len1377_factors_17_3_9_3_wgs_51_tpt_51_halfLds_dp_op_CI_CI_unitstride_sbrr_dirReg
	.p2align	8
	.type	fft_rtc_back_len1377_factors_17_3_9_3_wgs_51_tpt_51_halfLds_dp_op_CI_CI_unitstride_sbrr_dirReg,@function
fft_rtc_back_len1377_factors_17_3_9_3_wgs_51_tpt_51_halfLds_dp_op_CI_CI_unitstride_sbrr_dirReg: ; @fft_rtc_back_len1377_factors_17_3_9_3_wgs_51_tpt_51_halfLds_dp_op_CI_CI_unitstride_sbrr_dirReg
; %bb.0:
	s_clause 0x2
	s_load_dwordx4 s[12:15], s[4:5], 0x0
	s_load_dwordx4 s[8:11], s[4:5], 0x58
	;; [unrolled: 1-line block ×3, first 2 shown]
	v_mul_u32_u24_e32 v2, 0x506, v0
	v_mov_b32_e32 v1, 0
	s_mov_b64 s[62:63], s[2:3]
	s_mov_b64 s[60:61], s[0:1]
	v_mov_b32_e32 v4, 0
	v_add_nc_u32_sdwa v6, s6, v2 dst_sel:DWORD dst_unused:UNUSED_PAD src0_sel:DWORD src1_sel:WORD_1
	v_mov_b32_e32 v7, v1
	v_mov_b32_e32 v5, 0
	s_add_u32 s60, s60, s7
	s_addc_u32 s61, s61, 0
	s_waitcnt lgkmcnt(0)
	v_cmp_lt_u64_e64 s0, s[14:15], 2
	s_and_b32 vcc_lo, exec_lo, s0
	s_cbranch_vccnz .LBB0_8
; %bb.1:
	s_load_dwordx2 s[0:1], s[4:5], 0x10
	v_mov_b32_e32 v4, 0
	v_mov_b32_e32 v5, 0
	s_add_u32 s2, s18, 8
	s_addc_u32 s3, s19, 0
	s_add_u32 s6, s16, 8
	s_addc_u32 s7, s17, 0
	v_mov_b32_e32 v137, v5
	v_mov_b32_e32 v136, v4
	s_mov_b64 s[22:23], 1
	s_waitcnt lgkmcnt(0)
	s_add_u32 s20, s0, 8
	s_addc_u32 s21, s1, 0
.LBB0_2:                                ; =>This Inner Loop Header: Depth=1
	s_load_dwordx2 s[24:25], s[20:21], 0x0
                                        ; implicit-def: $vgpr138_vgpr139
	s_mov_b32 s0, exec_lo
	s_waitcnt lgkmcnt(0)
	v_or_b32_e32 v2, s25, v7
	v_cmpx_ne_u64_e32 0, v[1:2]
	s_xor_b32 s1, exec_lo, s0
	s_cbranch_execz .LBB0_4
; %bb.3:                                ;   in Loop: Header=BB0_2 Depth=1
	v_cvt_f32_u32_e32 v2, s24
	v_cvt_f32_u32_e32 v3, s25
	s_sub_u32 s0, 0, s24
	s_subb_u32 s26, 0, s25
	v_fmac_f32_e32 v2, 0x4f800000, v3
	v_rcp_f32_e32 v2, v2
	v_mul_f32_e32 v2, 0x5f7ffffc, v2
	v_mul_f32_e32 v3, 0x2f800000, v2
	v_trunc_f32_e32 v3, v3
	v_fmac_f32_e32 v2, 0xcf800000, v3
	v_cvt_u32_f32_e32 v3, v3
	v_cvt_u32_f32_e32 v2, v2
	v_mul_lo_u32 v8, s0, v3
	v_mul_hi_u32 v9, s0, v2
	v_mul_lo_u32 v10, s26, v2
	v_add_nc_u32_e32 v8, v9, v8
	v_mul_lo_u32 v9, s0, v2
	v_add_nc_u32_e32 v8, v8, v10
	v_mul_hi_u32 v10, v2, v9
	v_mul_lo_u32 v11, v2, v8
	v_mul_hi_u32 v12, v2, v8
	v_mul_hi_u32 v13, v3, v9
	v_mul_lo_u32 v9, v3, v9
	v_mul_hi_u32 v14, v3, v8
	v_mul_lo_u32 v8, v3, v8
	v_add_co_u32 v10, vcc_lo, v10, v11
	v_add_co_ci_u32_e32 v11, vcc_lo, 0, v12, vcc_lo
	v_add_co_u32 v9, vcc_lo, v10, v9
	v_add_co_ci_u32_e32 v9, vcc_lo, v11, v13, vcc_lo
	v_add_co_ci_u32_e32 v10, vcc_lo, 0, v14, vcc_lo
	v_add_co_u32 v8, vcc_lo, v9, v8
	v_add_co_ci_u32_e32 v9, vcc_lo, 0, v10, vcc_lo
	v_add_co_u32 v2, vcc_lo, v2, v8
	v_add_co_ci_u32_e32 v3, vcc_lo, v3, v9, vcc_lo
	v_mul_hi_u32 v8, s0, v2
	v_mul_lo_u32 v10, s26, v2
	v_mul_lo_u32 v9, s0, v3
	v_add_nc_u32_e32 v8, v8, v9
	v_mul_lo_u32 v9, s0, v2
	v_add_nc_u32_e32 v8, v8, v10
	v_mul_hi_u32 v10, v2, v9
	v_mul_lo_u32 v11, v2, v8
	v_mul_hi_u32 v12, v2, v8
	v_mul_hi_u32 v13, v3, v9
	v_mul_lo_u32 v9, v3, v9
	v_mul_hi_u32 v14, v3, v8
	v_mul_lo_u32 v8, v3, v8
	v_add_co_u32 v10, vcc_lo, v10, v11
	v_add_co_ci_u32_e32 v11, vcc_lo, 0, v12, vcc_lo
	v_add_co_u32 v9, vcc_lo, v10, v9
	v_add_co_ci_u32_e32 v9, vcc_lo, v11, v13, vcc_lo
	v_add_co_ci_u32_e32 v10, vcc_lo, 0, v14, vcc_lo
	v_add_co_u32 v8, vcc_lo, v9, v8
	v_add_co_ci_u32_e32 v9, vcc_lo, 0, v10, vcc_lo
	v_add_co_u32 v8, vcc_lo, v2, v8
	v_add_co_ci_u32_e32 v10, vcc_lo, v3, v9, vcc_lo
	v_mul_hi_u32 v12, v6, v8
	v_mad_u64_u32 v[8:9], null, v7, v8, 0
	v_mad_u64_u32 v[2:3], null, v6, v10, 0
	;; [unrolled: 1-line block ×3, first 2 shown]
	v_add_co_u32 v2, vcc_lo, v12, v2
	v_add_co_ci_u32_e32 v3, vcc_lo, 0, v3, vcc_lo
	v_add_co_u32 v2, vcc_lo, v2, v8
	v_add_co_ci_u32_e32 v2, vcc_lo, v3, v9, vcc_lo
	v_add_co_ci_u32_e32 v3, vcc_lo, 0, v11, vcc_lo
	v_add_co_u32 v8, vcc_lo, v2, v10
	v_add_co_ci_u32_e32 v9, vcc_lo, 0, v3, vcc_lo
	v_mul_lo_u32 v10, s25, v8
	v_mad_u64_u32 v[2:3], null, s24, v8, 0
	v_mul_lo_u32 v11, s24, v9
	v_sub_co_u32 v2, vcc_lo, v6, v2
	v_add3_u32 v3, v3, v11, v10
	v_sub_nc_u32_e32 v10, v7, v3
	v_subrev_co_ci_u32_e64 v10, s0, s25, v10, vcc_lo
	v_add_co_u32 v11, s0, v8, 2
	v_add_co_ci_u32_e64 v12, s0, 0, v9, s0
	v_sub_co_u32 v13, s0, v2, s24
	v_sub_co_ci_u32_e32 v3, vcc_lo, v7, v3, vcc_lo
	v_subrev_co_ci_u32_e64 v10, s0, 0, v10, s0
	v_cmp_le_u32_e32 vcc_lo, s24, v13
	v_cmp_eq_u32_e64 s0, s25, v3
	v_cndmask_b32_e64 v13, 0, -1, vcc_lo
	v_cmp_le_u32_e32 vcc_lo, s25, v10
	v_cndmask_b32_e64 v14, 0, -1, vcc_lo
	v_cmp_le_u32_e32 vcc_lo, s24, v2
	;; [unrolled: 2-line block ×3, first 2 shown]
	v_cndmask_b32_e64 v15, 0, -1, vcc_lo
	v_cmp_eq_u32_e32 vcc_lo, s25, v10
	v_cndmask_b32_e64 v2, v15, v2, s0
	v_cndmask_b32_e32 v10, v14, v13, vcc_lo
	v_add_co_u32 v13, vcc_lo, v8, 1
	v_add_co_ci_u32_e32 v14, vcc_lo, 0, v9, vcc_lo
	v_cmp_ne_u32_e32 vcc_lo, 0, v10
	v_cndmask_b32_e32 v3, v14, v12, vcc_lo
	v_cndmask_b32_e32 v10, v13, v11, vcc_lo
	v_cmp_ne_u32_e32 vcc_lo, 0, v2
	v_cndmask_b32_e32 v139, v9, v3, vcc_lo
	v_cndmask_b32_e32 v138, v8, v10, vcc_lo
.LBB0_4:                                ;   in Loop: Header=BB0_2 Depth=1
	s_andn2_saveexec_b32 s0, s1
	s_cbranch_execz .LBB0_6
; %bb.5:                                ;   in Loop: Header=BB0_2 Depth=1
	v_cvt_f32_u32_e32 v2, s24
	s_sub_i32 s1, 0, s24
	v_mov_b32_e32 v139, v1
	v_rcp_iflag_f32_e32 v2, v2
	v_mul_f32_e32 v2, 0x4f7ffffe, v2
	v_cvt_u32_f32_e32 v2, v2
	v_mul_lo_u32 v3, s1, v2
	v_mul_hi_u32 v3, v2, v3
	v_add_nc_u32_e32 v2, v2, v3
	v_mul_hi_u32 v2, v6, v2
	v_mul_lo_u32 v3, v2, s24
	v_add_nc_u32_e32 v8, 1, v2
	v_sub_nc_u32_e32 v3, v6, v3
	v_subrev_nc_u32_e32 v9, s24, v3
	v_cmp_le_u32_e32 vcc_lo, s24, v3
	v_cndmask_b32_e32 v3, v3, v9, vcc_lo
	v_cndmask_b32_e32 v2, v2, v8, vcc_lo
	v_cmp_le_u32_e32 vcc_lo, s24, v3
	v_add_nc_u32_e32 v8, 1, v2
	v_cndmask_b32_e32 v138, v2, v8, vcc_lo
.LBB0_6:                                ;   in Loop: Header=BB0_2 Depth=1
	s_or_b32 exec_lo, exec_lo, s0
	v_mul_lo_u32 v8, v139, s24
	v_mul_lo_u32 v9, v138, s25
	s_load_dwordx2 s[0:1], s[6:7], 0x0
	v_mad_u64_u32 v[2:3], null, v138, s24, 0
	s_load_dwordx2 s[24:25], s[2:3], 0x0
	s_add_u32 s22, s22, 1
	s_addc_u32 s23, s23, 0
	s_add_u32 s2, s2, 8
	s_addc_u32 s3, s3, 0
	s_add_u32 s6, s6, 8
	v_add3_u32 v3, v3, v9, v8
	v_sub_co_u32 v2, vcc_lo, v6, v2
	s_addc_u32 s7, s7, 0
	s_add_u32 s20, s20, 8
	v_sub_co_ci_u32_e32 v3, vcc_lo, v7, v3, vcc_lo
	s_addc_u32 s21, s21, 0
	s_waitcnt lgkmcnt(0)
	v_mul_lo_u32 v6, s0, v3
	v_mul_lo_u32 v7, s1, v2
	v_mad_u64_u32 v[4:5], null, s0, v2, v[4:5]
	v_mul_lo_u32 v3, s24, v3
	v_mul_lo_u32 v8, s25, v2
	v_mad_u64_u32 v[136:137], null, s24, v2, v[136:137]
	v_cmp_ge_u64_e64 s0, s[22:23], s[14:15]
	v_add3_u32 v5, v7, v5, v6
	v_add3_u32 v137, v8, v137, v3
	s_and_b32 vcc_lo, exec_lo, s0
	s_cbranch_vccnz .LBB0_9
; %bb.7:                                ;   in Loop: Header=BB0_2 Depth=1
	v_mov_b32_e32 v6, v138
	v_mov_b32_e32 v7, v139
	s_branch .LBB0_2
.LBB0_8:
	v_mov_b32_e32 v137, v5
	v_mov_b32_e32 v139, v7
	;; [unrolled: 1-line block ×4, first 2 shown]
.LBB0_9:
	s_load_dwordx2 s[0:1], s[4:5], 0x28
	v_mul_hi_u32 v1, 0x5050506, v0
	s_lshl_b64 s[4:5], s[14:15], 3
                                        ; implicit-def: $vgpr198
	s_add_u32 s2, s18, s4
	s_addc_u32 s3, s19, s5
	s_waitcnt lgkmcnt(0)
	v_cmp_gt_u64_e32 vcc_lo, s[0:1], v[138:139]
	v_cmp_le_u64_e64 s0, s[0:1], v[138:139]
	s_and_saveexec_b32 s1, s0
	s_xor_b32 s0, exec_lo, s1
; %bb.10:
	v_mul_u32_u24_e32 v1, 51, v1
                                        ; implicit-def: $vgpr4_vgpr5
	v_sub_nc_u32_e32 v198, v0, v1
                                        ; implicit-def: $vgpr1
                                        ; implicit-def: $vgpr0
; %bb.11:
	s_or_saveexec_b32 s1, s0
	s_load_dwordx2 s[2:3], s[2:3], 0x0
                                        ; implicit-def: $vgpr2_vgpr3
	buffer_store_dword v0, off, s[60:63], 0 ; 4-byte Folded Spill
	buffer_store_dword v1, off, s[60:63], 0 offset:4 ; 4-byte Folded Spill
	buffer_store_dword v2, off, s[60:63], 0 offset:8 ; 4-byte Folded Spill
	;; [unrolled: 1-line block ×3, first 2 shown]
                                        ; implicit-def: $vgpr18_vgpr19
                                        ; implicit-def: $vgpr22_vgpr23
                                        ; implicit-def: $vgpr66_vgpr67
                                        ; implicit-def: $vgpr62_vgpr63
                                        ; implicit-def: $vgpr58_vgpr59
                                        ; implicit-def: $vgpr54_vgpr55
                                        ; implicit-def: $vgpr50_vgpr51
                                        ; implicit-def: $vgpr14_vgpr15
                                        ; implicit-def: $vgpr10_vgpr11
                                        ; implicit-def: $vgpr46_vgpr47
                                        ; implicit-def: $vgpr42_vgpr43
                                        ; implicit-def: $vgpr38_vgpr39
                                        ; implicit-def: $vgpr34_vgpr35
                                        ; implicit-def: $vgpr30_vgpr31
                                        ; implicit-def: $vgpr26_vgpr27
                                        ; implicit-def: $vgpr2_vgpr3
                                        ; implicit-def: $vgpr134_vgpr135
                                        ; implicit-def: $vgpr130_vgpr131
                                        ; implicit-def: $vgpr126_vgpr127
                                        ; implicit-def: $vgpr114_vgpr115
                                        ; implicit-def: $vgpr102_vgpr103
                                        ; implicit-def: $vgpr90_vgpr91
                                        ; implicit-def: $vgpr82_vgpr83
                                        ; implicit-def: $vgpr74_vgpr75
                                        ; implicit-def: $vgpr70_vgpr71
                                        ; implicit-def: $vgpr78_vgpr79
                                        ; implicit-def: $vgpr86_vgpr87
                                        ; implicit-def: $vgpr94_vgpr95
                                        ; implicit-def: $vgpr98_vgpr99
                                        ; implicit-def: $vgpr110_vgpr111
                                        ; implicit-def: $vgpr122_vgpr123
                                        ; implicit-def: $vgpr118_vgpr119
                                        ; implicit-def: $vgpr106_vgpr107
	s_xor_b32 exec_lo, exec_lo, s1
	s_cbranch_execz .LBB0_15
; %bb.12:
	s_add_u32 s4, s16, s4
	s_addc_u32 s5, s17, s5
                                        ; implicit-def: $vgpr24_vgpr25
                                        ; implicit-def: $vgpr28_vgpr29
                                        ; implicit-def: $vgpr32_vgpr33
                                        ; implicit-def: $vgpr36_vgpr37
                                        ; implicit-def: $vgpr40_vgpr41
                                        ; implicit-def: $vgpr44_vgpr45
                                        ; implicit-def: $vgpr8_vgpr9
                                        ; implicit-def: $vgpr12_vgpr13
                                        ; implicit-def: $vgpr48_vgpr49
                                        ; implicit-def: $vgpr52_vgpr53
                                        ; implicit-def: $vgpr56_vgpr57
                                        ; implicit-def: $vgpr60_vgpr61
                                        ; implicit-def: $vgpr64_vgpr65
                                        ; implicit-def: $vgpr20_vgpr21
                                        ; implicit-def: $vgpr16_vgpr17
	s_load_dwordx2 s[4:5], s[4:5], 0x0
	s_waitcnt lgkmcnt(0)
	v_mul_lo_u32 v6, s5, v138
	v_mul_lo_u32 v7, s4, v139
	v_mad_u64_u32 v[2:3], null, s4, v138, 0
	s_mov_b32 s4, exec_lo
	v_add3_u32 v3, v3, v7, v6
	v_mul_u32_u24_e32 v6, 51, v1
	v_lshlrev_b64 v[1:2], 4, v[2:3]
	v_lshlrev_b64 v[3:4], 4, v[4:5]
	v_sub_nc_u32_e32 v198, v0, v6
	v_add_co_u32 v0, s0, s8, v1
	v_add_co_ci_u32_e64 v1, s0, s9, v2, s0
	v_lshlrev_b32_e32 v2, 4, v198
	v_add_co_u32 v0, s0, v0, v3
	v_add_co_ci_u32_e64 v1, s0, v1, v4, s0
                                        ; implicit-def: $vgpr4_vgpr5
	v_add_co_u32 v2, s0, v0, v2
	v_add_co_ci_u32_e64 v3, s0, 0, v1, s0
                                        ; implicit-def: $vgpr0_vgpr1
	s_clause 0x1
	global_load_dwordx4 v[104:107], v[2:3], off
	global_load_dwordx4 v[116:119], v[2:3], off offset:1296
	v_add_co_u32 v6, s0, 0x800, v2
	v_add_co_ci_u32_e64 v7, s0, 0, v3, s0
	v_add_co_u32 v34, s0, 0x1000, v2
	v_add_co_ci_u32_e64 v35, s0, 0, v3, s0
	;; [unrolled: 2-line block ×8, first 2 shown]
	v_add_co_u32 v22, s0, 0x4800, v2
	s_clause 0x9
	global_load_dwordx4 v[120:123], v[6:7], off offset:544
	global_load_dwordx4 v[108:111], v[6:7], off offset:1840
	global_load_dwordx4 v[96:99], v[34:35], off offset:1088
	global_load_dwordx4 v[92:95], v[38:39], off offset:336
	global_load_dwordx4 v[84:87], v[38:39], off offset:1632
	global_load_dwordx4 v[76:79], v[14:15], off offset:880
	global_load_dwordx4 v[68:71], v[10:11], off offset:128
	global_load_dwordx4 v[72:75], v[10:11], off offset:1424
	global_load_dwordx4 v[80:83], v[50:51], off offset:672
	global_load_dwordx4 v[88:91], v[50:51], off offset:1968
	v_add_co_ci_u32_e64 v23, s0, 0, v3, s0
	v_add_co_u32 v18, s0, 0x5000, v2
	v_add_co_ci_u32_e64 v19, s0, 0, v3, s0
	s_clause 0x4
	global_load_dwordx4 v[100:103], v[58:59], off offset:1216
	global_load_dwordx4 v[112:115], v[62:63], off offset:464
	;; [unrolled: 1-line block ×5, first 2 shown]
	buffer_store_dword v4, off, s[60:63], 0 ; 4-byte Folded Spill
	buffer_store_dword v5, off, s[60:63], 0 offset:4 ; 4-byte Folded Spill
	buffer_store_dword v6, off, s[60:63], 0 offset:8 ; 4-byte Folded Spill
	;; [unrolled: 1-line block ×3, first 2 shown]
	v_cmpx_gt_u32_e32 30, v198
	s_cbranch_execz .LBB0_14
; %bb.13:
	s_clause 0x2
	global_load_dwordx4 v[0:3], v[2:3], off offset:816
	global_load_dwordx4 v[24:27], v[6:7], off offset:64
	;; [unrolled: 1-line block ×3, first 2 shown]
	s_waitcnt vmcnt(0)
	buffer_store_dword v4, off, s[60:63], 0 ; 4-byte Folded Spill
	buffer_store_dword v5, off, s[60:63], 0 offset:4 ; 4-byte Folded Spill
	buffer_store_dword v6, off, s[60:63], 0 offset:8 ; 4-byte Folded Spill
	;; [unrolled: 1-line block ×3, first 2 shown]
	s_clause 0xd
	global_load_dwordx4 v[28:31], v[34:35], off offset:608
	global_load_dwordx4 v[32:35], v[34:35], off offset:1904
	;; [unrolled: 1-line block ×14, first 2 shown]
.LBB0_14:
	s_or_b32 exec_lo, exec_lo, s4
.LBB0_15:
	s_or_b32 exec_lo, exec_lo, s1
	s_waitcnt vmcnt(15)
	v_add_f64 v[140:141], v[116:117], v[104:105]
	s_waitcnt vmcnt(0)
	v_add_f64 v[144:145], v[118:119], -v[134:135]
	s_mov_b32 s46, 0xeb564b22
	s_mov_b32 s47, 0xbfefdd0d
	v_add_f64 v[142:143], v[132:133], v[116:117]
	v_add_f64 v[146:147], v[122:123], -v[130:131]
	s_mov_b32 s42, 0x5d8e7cdc
	s_mov_b32 s14, 0x3259b75e
	;; [unrolled: 1-line block ×6, first 2 shown]
	v_add_f64 v[148:149], v[128:129], v[120:121]
	s_mov_b32 s8, 0x370991
	s_mov_b32 s44, 0x2a9d6da3
	;; [unrolled: 1-line block ×9, first 2 shown]
	v_add_f64 v[140:141], v[120:121], v[140:141]
	v_mul_f64 v[164:165], v[144:145], s[46:47]
	v_mul_f64 v[158:159], v[144:145], s[42:43]
	s_mov_b32 s49, 0xbfeca52d
	s_mov_b32 s17, 0xbfeec746
	v_mul_f64 v[178:179], v[146:147], s[36:37]
	s_mov_b32 s21, 0xbfe9895b
	s_mov_b32 s25, 0xbfe0d888
	;; [unrolled: 1-line block ×11, first 2 shown]
	v_mul_f64 v[160:161], v[144:145], s[44:45]
	v_mul_f64 v[162:163], v[144:145], s[48:49]
	;; [unrolled: 1-line block ×5, first 2 shown]
	v_add_f64 v[140:141], v[108:109], v[140:141]
	v_fma_f64 v[219:220], v[142:143], s[14:15], v[164:165]
	v_fma_f64 v[164:165], v[142:143], s[14:15], -v[164:165]
	v_mul_f64 v[144:145], v[144:145], s[36:37]
	v_mul_f64 v[172:173], v[146:147], s[44:45]
	;; [unrolled: 1-line block ×8, first 2 shown]
	v_fma_f64 v[213:214], v[142:143], s[8:9], v[158:159]
	v_fma_f64 v[233:234], v[148:149], s[38:39], v[178:179]
	v_fma_f64 v[178:179], v[148:149], s[38:39], -v[178:179]
	s_mov_b32 s4, 0x75d4884
	s_mov_b32 s6, 0x2b2883cd
	;; [unrolled: 1-line block ×8, first 2 shown]
	v_add_f64 v[140:141], v[96:97], v[140:141]
	s_mov_b32 s23, 0xbfe348c8
	v_add_f64 v[164:165], v[104:105], v[164:165]
	s_mov_b32 s27, 0xbfeb34fa
	v_add_f64 v[150:151], v[110:111], -v[126:127]
	v_add_f64 v[156:157], v[98:99], -v[114:115]
	v_fma_f64 v[158:159], v[142:143], s[8:9], -v[158:159]
	v_fma_f64 v[215:216], v[142:143], s[4:5], v[160:161]
	v_fma_f64 v[160:161], v[142:143], s[4:5], -v[160:161]
	v_fma_f64 v[217:218], v[142:143], s[6:7], v[162:163]
	;; [unrolled: 2-line block ×7, first 2 shown]
	v_fma_f64 v[241:242], v[148:149], s[8:9], v[146:147]
	v_fma_f64 v[243:244], v[148:149], s[8:9], -v[146:147]
	v_add_f64 v[140:141], v[92:93], v[140:141]
	v_add_f64 v[146:147], v[104:105], v[213:214]
	;; [unrolled: 1-line block ×3, first 2 shown]
	s_mov_b32 s57, 0x3fc7851a
	s_mov_b32 s35, 0x3fe58eea
	;; [unrolled: 1-line block ×6, first 2 shown]
	v_add_f64 v[152:153], v[124:125], v[108:109]
	v_add_f64 v[154:155], v[112:113], v[96:97]
	v_mul_f64 v[186:187], v[150:151], s[48:49]
	v_mul_f64 v[188:189], v[150:151], s[20:21]
	;; [unrolled: 1-line block ×11, first 2 shown]
	v_add_f64 v[140:141], v[84:85], v[140:141]
	v_mul_f64 v[207:208], v[156:157], s[30:31]
	v_mul_f64 v[209:210], v[156:157], s[48:49]
	;; [unrolled: 1-line block ×3, first 2 shown]
	v_fma_f64 v[144:145], v[148:149], s[4:5], -v[172:173]
	v_fma_f64 v[172:173], v[148:149], s[14:15], v[174:175]
	v_fma_f64 v[174:175], v[148:149], s[14:15], -v[174:175]
	v_fma_f64 v[231:232], v[148:149], s[22:23], v[176:177]
	;; [unrolled: 2-line block ×5, first 2 shown]
	v_fma_f64 v[184:185], v[148:149], s[6:7], -v[184:185]
	v_add_f64 v[148:149], v[104:105], v[158:159]
	v_add_f64 v[158:159], v[104:105], v[215:216]
	;; [unrolled: 1-line block ×10, first 2 shown]
	v_mul_f64 v[146:147], v[156:157], s[54:55]
	v_mul_f64 v[156:157], v[156:157], s[34:35]
	v_fma_f64 v[219:220], v[152:153], s[6:7], v[186:187]
	v_fma_f64 v[186:187], v[152:153], s[6:7], -v[186:187]
	v_fma_f64 v[221:222], v[152:153], s[22:23], v[188:189]
	v_fma_f64 v[188:189], v[152:153], s[22:23], -v[188:189]
	;; [unrolled: 2-line block ×3, first 2 shown]
	v_fma_f64 v[247:248], v[152:153], s[18:19], v[192:193]
	v_add_f64 v[223:224], v[104:105], v[223:224]
	v_add_f64 v[168:169], v[104:105], v[168:169]
	;; [unrolled: 1-line block ×13, first 2 shown]
	v_fma_f64 v[180:181], v[152:153], s[18:19], -v[192:193]
	v_fma_f64 v[192:193], v[152:153], s[4:5], v[194:195]
	v_fma_f64 v[194:195], v[152:153], s[4:5], -v[194:195]
	v_fma_f64 v[213:214], v[152:153], s[8:9], v[196:197]
	;; [unrolled: 2-line block ×9, first 2 shown]
	v_fma_f64 v[6:7], v[154:155], s[6:7], -v[209:210]
	v_add_f64 v[178:179], v[72:73], v[178:179]
	v_fma_f64 v[140:141], v[154:155], s[26:27], v[211:212]
	v_fma_f64 v[142:143], v[154:155], s[26:27], -v[211:212]
	v_fma_f64 v[144:145], v[154:155], s[22:23], v[146:147]
	v_fma_f64 v[146:147], v[154:155], s[22:23], -v[146:147]
	;; [unrolled: 2-line block ×3, first 2 shown]
	v_add_f64 v[154:155], v[94:95], -v[102:103]
	v_add_f64 v[156:157], v[104:105], v[227:228]
	v_add_f64 v[104:105], v[104:105], v[229:230]
	;; [unrolled: 1-line block ×5, first 2 shown]
	v_add_f64 v[182:183], v[86:87], -v[90:91]
	v_add_f64 v[223:224], v[239:240], v[225:226]
	v_add_f64 v[170:171], v[184:185], v[170:171]
	;; [unrolled: 1-line block ×9, first 2 shown]
	s_mov_b32 s41, 0x3fefdd0d
	s_mov_b32 s40, s46
	v_add_f64 v[225:226], v[88:89], v[84:85]
	v_add_f64 v[162:163], v[190:191], v[162:163]
	;; [unrolled: 1-line block ×4, first 2 shown]
	v_mul_f64 v[184:185], v[154:155], s[16:17]
	v_add_f64 v[156:157], v[241:242], v[156:157]
	v_mul_f64 v[227:228], v[154:155], s[52:53]
	v_add_f64 v[104:105], v[243:244], v[104:105]
	v_mul_f64 v[229:230], v[154:155], s[34:35]
	v_mul_f64 v[237:238], v[154:155], s[48:49]
	;; [unrolled: 1-line block ×7, first 2 shown]
	v_add_f64 v[166:167], v[194:195], v[166:167]
	v_add_f64 v[209:210], v[213:214], v[209:210]
	;; [unrolled: 1-line block ×11, first 2 shown]
	v_fma_f64 v[192:193], v[211:212], s[18:19], v[184:185]
	v_fma_f64 v[184:185], v[211:212], s[18:19], -v[184:185]
	v_fma_f64 v[194:195], v[211:212], s[26:27], v[227:228]
	v_fma_f64 v[227:228], v[211:212], s[26:27], -v[227:228]
	v_fma_f64 v[213:214], v[211:212], s[4:5], v[229:230]
	v_fma_f64 v[196:197], v[211:212], s[6:7], v[237:238]
	v_add_f64 v[156:157], v[217:218], v[156:157]
	v_add_f64 v[104:105], v[152:153], v[104:105]
	;; [unrolled: 1-line block ×3, first 2 shown]
	v_mul_f64 v[190:191], v[182:183], s[50:51]
	v_mul_f64 v[243:244], v[182:183], s[42:43]
	;; [unrolled: 1-line block ×3, first 2 shown]
	v_fma_f64 v[229:230], v[211:212], s[4:5], -v[229:230]
	v_fma_f64 v[237:238], v[211:212], s[6:7], -v[237:238]
	v_fma_f64 v[223:224], v[211:212], s[38:39], v[239:240]
	v_add_f64 v[178:179], v[100:101], v[178:179]
	v_add_f64 v[162:163], v[205:206], v[162:163]
	v_fma_f64 v[199:200], v[211:212], s[38:39], -v[239:240]
	v_fma_f64 v[201:202], v[211:212], s[14:15], v[221:222]
	v_add_f64 v[164:165], v[207:208], v[164:165]
	v_add_f64 v[4:5], v[4:5], v[176:177]
	;; [unrolled: 1-line block ×3, first 2 shown]
	v_fma_f64 v[166:167], v[211:212], s[8:9], v[188:189]
	v_fma_f64 v[176:177], v[211:212], s[8:9], -v[188:189]
	v_add_f64 v[140:141], v[140:141], v[209:210]
	v_add_f64 v[142:143], v[142:143], v[168:169]
	;; [unrolled: 1-line block ×12, first 2 shown]
	v_add_f64 v[172:173], v[78:79], -v[82:83]
	v_add_f64 v[168:169], v[112:113], v[178:179]
	v_fma_f64 v[174:175], v[211:212], s[22:23], v[154:155]
	v_fma_f64 v[154:155], v[211:212], s[22:23], -v[154:155]
	v_fma_f64 v[178:179], v[225:226], s[22:23], v[241:242]
	v_mul_f64 v[184:185], v[182:183], s[40:41]
	v_fma_f64 v[203:204], v[211:212], s[14:15], -v[221:222]
	v_add_f64 v[162:163], v[229:230], v[162:163]
	v_add_f64 v[164:165], v[237:238], v[164:165]
	;; [unrolled: 1-line block ×4, first 2 shown]
	v_fma_f64 v[186:187], v[225:226], s[22:23], -v[241:242]
	v_add_f64 v[140:141], v[201:202], v[140:141]
	v_fma_f64 v[188:189], v[225:226], s[18:19], v[190:191]
	v_fma_f64 v[190:191], v[225:226], s[18:19], -v[190:191]
	v_fma_f64 v[192:193], v[225:226], s[8:9], v[243:244]
	v_mul_f64 v[194:195], v[182:183], s[44:45]
	v_fma_f64 v[196:197], v[225:226], s[8:9], -v[243:244]
	v_mul_f64 v[199:200], v[182:183], s[36:37]
	v_fma_f64 v[201:202], v[225:226], s[26:27], v[180:181]
	v_add_f64 v[144:145], v[166:167], v[144:145]
	v_mul_f64 v[166:167], v[182:183], s[28:29]
	v_add_f64 v[146:147], v[176:177], v[146:147]
	v_add_f64 v[176:177], v[80:81], v[76:77]
	v_mul_f64 v[182:183], v[172:173], s[24:25]
	v_add_f64 v[104:105], v[154:155], v[104:105]
	v_mul_f64 v[154:155], v[172:173], s[46:47]
	v_fma_f64 v[180:181], v[225:226], s[26:27], -v[180:181]
	v_add_f64 v[150:151], v[178:179], v[150:151]
	v_fma_f64 v[178:179], v[225:226], s[14:15], v[184:185]
	v_add_f64 v[148:149], v[174:175], v[148:149]
	v_mul_f64 v[174:175], v[172:173], s[28:29]
	v_add_f64 v[142:143], v[203:204], v[142:143]
	v_add_f64 v[152:153], v[186:187], v[152:153]
	v_fma_f64 v[184:185], v[225:226], s[14:15], -v[184:185]
	v_add_f64 v[156:157], v[188:189], v[156:157]
	v_add_f64 v[158:159], v[190:191], v[158:159]
	;; [unrolled: 1-line block ×3, first 2 shown]
	v_fma_f64 v[186:187], v[225:226], s[4:5], v[194:195]
	v_fma_f64 v[188:189], v[225:226], s[4:5], -v[194:195]
	v_add_f64 v[162:163], v[196:197], v[162:163]
	v_fma_f64 v[190:191], v[225:226], s[38:39], v[199:200]
	v_fma_f64 v[192:193], v[225:226], s[38:39], -v[199:200]
	v_fma_f64 v[194:195], v[225:226], s[6:7], v[166:167]
	v_mul_f64 v[196:197], v[172:173], s[54:55]
	v_fma_f64 v[166:167], v[225:226], s[6:7], -v[166:167]
	v_fma_f64 v[199:200], v[176:177], s[26:27], v[182:183]
	v_fma_f64 v[182:183], v[176:177], s[26:27], -v[182:183]
	v_mul_f64 v[203:204], v[172:173], s[42:43]
	v_fma_f64 v[205:206], v[176:177], s[14:15], v[154:155]
	v_mul_f64 v[207:208], v[172:173], s[36:37]
	v_add_f64 v[164:165], v[180:181], v[164:165]
	v_mul_f64 v[180:181], v[172:173], s[34:35]
	v_add_f64 v[4:5], v[178:179], v[4:5]
	v_mul_f64 v[172:173], v[172:173], s[16:17]
	v_add_f64 v[178:179], v[70:71], -v[74:75]
	v_add_f64 v[170:171], v[201:202], v[170:171]
	v_fma_f64 v[201:202], v[176:177], s[6:7], v[174:175]
	v_fma_f64 v[174:175], v[176:177], s[6:7], -v[174:175]
	v_add_f64 v[6:7], v[184:185], v[6:7]
	v_add_f64 v[168:169], v[124:125], v[168:169]
	;; [unrolled: 1-line block ×5, first 2 shown]
	v_fma_f64 v[154:155], v[176:177], s[14:15], -v[154:155]
	v_add_f64 v[146:147], v[192:193], v[146:147]
	v_add_f64 v[148:149], v[194:195], v[148:149]
	v_fma_f64 v[184:185], v[176:177], s[22:23], v[196:197]
	v_add_f64 v[104:105], v[166:167], v[104:105]
	v_add_f64 v[150:151], v[199:200], v[150:151]
	;; [unrolled: 1-line block ×3, first 2 shown]
	v_fma_f64 v[166:167], v[176:177], s[22:23], -v[196:197]
	v_fma_f64 v[182:183], v[176:177], s[8:9], v[203:204]
	v_fma_f64 v[186:187], v[176:177], s[8:9], -v[203:204]
	v_fma_f64 v[188:189], v[176:177], s[38:39], v[207:208]
	;; [unrolled: 2-line block ×4, first 2 shown]
	v_fma_f64 v[172:173], v[176:177], s[18:19], -v[172:173]
	v_add_f64 v[176:177], v[72:73], v[68:69]
	v_mul_f64 v[196:197], v[178:179], s[36:37]
	v_mul_f64 v[199:200], v[178:179], s[30:31]
	v_add_f64 v[160:161], v[205:206], v[160:161]
	v_mul_f64 v[205:206], v[178:179], s[28:29]
	v_mul_f64 v[207:208], v[178:179], s[16:17]
	v_add_f64 v[156:157], v[201:202], v[156:157]
	v_add_f64 v[158:159], v[174:175], v[158:159]
	v_mul_f64 v[174:175], v[178:179], s[24:25]
	v_mul_f64 v[201:202], v[178:179], s[34:35]
	;; [unrolled: 1-line block ×4, first 2 shown]
	v_add_f64 v[154:155], v[154:155], v[162:163]
	v_add_f64 v[162:163], v[184:185], v[170:171]
	;; [unrolled: 1-line block ×11, first 2 shown]
	v_fma_f64 v[166:167], v[176:177], s[38:39], v[196:197]
	v_fma_f64 v[170:171], v[176:177], s[8:9], v[199:200]
	v_fma_f64 v[172:173], v[176:177], s[8:9], -v[199:200]
	v_fma_f64 v[194:195], v[176:177], s[6:7], -v[205:206]
	;; [unrolled: 1-line block ×3, first 2 shown]
	v_add_f64 v[144:145], v[192:193], v[144:145]
	v_fma_f64 v[188:189], v[176:177], s[6:7], v[205:206]
	v_fma_f64 v[180:181], v[176:177], s[26:27], v[174:175]
	;; [unrolled: 1-line block ×3, first 2 shown]
	v_fma_f64 v[184:185], v[176:177], s[4:5], -v[201:202]
	v_fma_f64 v[201:202], v[176:177], s[22:23], -v[203:204]
	v_fma_f64 v[186:187], v[176:177], s[22:23], v[203:204]
	v_fma_f64 v[174:175], v[176:177], s[26:27], -v[174:175]
	v_fma_f64 v[190:191], v[176:177], s[18:19], v[207:208]
	v_fma_f64 v[192:193], v[176:177], s[14:15], v[178:179]
	v_fma_f64 v[178:179], v[176:177], s[14:15], -v[178:179]
	v_fma_f64 v[176:177], v[176:177], s[38:39], -v[196:197]
	v_add_f64 v[168:169], v[132:133], v[168:169]
	v_cmp_gt_u32_e64 s0, 30, v198
	v_add_f64 v[150:151], v[166:167], v[150:151]
	v_add_f64 v[156:157], v[170:171], v[156:157]
	;; [unrolled: 1-line block ×5, first 2 shown]
	v_mad_u32_u24 v199, 0x88, v198, 0
	v_add_f64 v[140:141], v[188:189], v[140:141]
	v_add_f64 v[160:161], v[180:181], v[160:161]
	;; [unrolled: 1-line block ×11, first 2 shown]
	ds_write2_b64 v199, v[168:169], v[150:151] offset1:1
	ds_write2_b64 v199, v[156:157], v[160:161] offset0:2 offset1:3
	ds_write2_b64 v199, v[162:163], v[4:5] offset0:4 offset1:5
	;; [unrolled: 1-line block ×7, first 2 shown]
	ds_write_b64 v199, v[152:153] offset:128
	s_and_saveexec_b32 s1, s0
	s_cbranch_execz .LBB0_17
; %bb.16:
	s_clause 0x3
	buffer_load_dword v224, off, s[60:63], 0
	buffer_load_dword v225, off, s[60:63], 0 offset:4
	buffer_load_dword v226, off, s[60:63], 0 offset:8
	buffer_load_dword v227, off, s[60:63], 0 offset:12
	v_add_f64 v[194:195], v[16:17], v[24:25]
	v_add_f64 v[192:193], v[26:27], -v[18:19]
	v_add_f64 v[188:189], v[64:65], v[28:29]
	v_add_f64 v[186:187], v[60:61], v[32:33]
	v_add_f64 v[176:177], v[30:31], -v[66:67]
	v_add_f64 v[184:185], v[56:57], v[36:37]
	v_add_f64 v[174:175], v[34:35], -v[62:63]
	;; [unrolled: 2-line block ×5, first 2 shown]
	v_add_f64 v[166:167], v[10:11], -v[14:15]
	v_mul_f64 v[164:165], v[194:195], s[38:39]
	v_mul_f64 v[200:201], v[194:195], s[26:27]
	;; [unrolled: 1-line block ×14, first 2 shown]
	v_fma_f64 v[196:197], v[192:193], s[56:57], v[164:165]
	v_fma_f64 v[202:203], v[192:193], s[52:53], v[200:201]
	;; [unrolled: 1-line block ×14, first 2 shown]
	v_add_f64 v[196:197], v[0:1], v[196:197]
	v_add_f64 v[202:203], v[0:1], v[202:203]
	;; [unrolled: 1-line block ×7, first 2 shown]
	s_waitcnt vmcnt(2)
	v_add_f64 v[190:191], v[20:21], v[224:225]
	s_waitcnt vmcnt(0)
	v_add_f64 v[178:179], v[226:227], -v[22:23]
	v_mul_f64 v[158:159], v[190:191], s[8:9]
	v_fma_f64 v[160:161], v[178:179], s[42:43], v[158:159]
	v_add_f64 v[160:161], v[160:161], v[196:197]
	v_add_f64 v[156:157], v[156:157], v[160:161]
	v_add_f64 v[152:153], v[152:153], v[156:157]
	v_add_f64 v[148:149], v[148:149], v[152:153]
	v_add_f64 v[142:143], v[142:143], v[148:149]
	v_fma_f64 v[148:149], v[178:179], s[30:31], v[158:159]
	v_mul_f64 v[158:159], v[188:189], s[14:15]
	v_add_f64 v[140:141], v[140:141], v[142:143]
	v_fma_f64 v[160:161], v[176:177], s[40:41], v[158:159]
	v_add_f64 v[142:143], v[6:7], v[140:141]
	v_fma_f64 v[6:7], v[168:169], s[16:17], v[104:105]
	v_fma_f64 v[104:105], v[170:171], s[28:29], v[144:145]
	;; [unrolled: 1-line block ×4, first 2 shown]
	v_mul_f64 v[164:165], v[190:191], s[6:7]
	v_fma_f64 v[140:141], v[172:173], s[20:21], v[146:147]
	v_fma_f64 v[146:147], v[176:177], s[24:25], v[154:155]
	v_mul_f64 v[154:155], v[186:187], s[22:23]
	v_add_f64 v[150:151], v[0:1], v[150:151]
	v_fma_f64 v[196:197], v[178:179], s[48:49], v[164:165]
	v_fma_f64 v[156:157], v[174:175], s[20:21], v[154:155]
	v_add_f64 v[148:149], v[148:149], v[150:151]
	v_add_f64 v[196:197], v[196:197], v[202:203]
	v_mul_f64 v[150:151], v[184:185], s[8:9]
	v_add_f64 v[146:147], v[146:147], v[148:149]
	v_add_f64 v[160:161], v[160:161], v[196:197]
	v_fma_f64 v[152:153], v[172:173], s[30:31], v[150:151]
	v_add_f64 v[144:145], v[144:145], v[146:147]
	v_add_f64 v[156:157], v[156:157], v[160:161]
	;; [unrolled: 1-line block ×3, first 2 shown]
	v_mul_f64 v[144:145], v[182:183], s[38:39]
	v_add_f64 v[152:153], v[152:153], v[156:157]
	v_add_f64 v[104:105], v[104:105], v[140:141]
	v_mul_f64 v[140:141], v[180:181], s[4:5]
	v_fma_f64 v[148:149], v[170:171], s[56:57], v[144:145]
	v_add_f64 v[6:7], v[6:7], v[104:105]
	v_fma_f64 v[104:105], v[168:169], s[44:45], v[140:141]
	v_add_f64 v[148:149], v[148:149], v[152:153]
	v_fma_f64 v[152:153], v[178:179], s[28:29], v[164:165]
	v_mul_f64 v[164:165], v[188:189], s[8:9]
	v_add_f64 v[146:147], v[4:5], v[6:7]
	v_mul_f64 v[4:5], v[162:163], s[18:19]
	v_add_f64 v[104:105], v[104:105], v[148:149]
	v_fma_f64 v[148:149], v[174:175], s[54:55], v[154:155]
	v_fma_f64 v[154:155], v[192:193], s[24:25], v[200:201]
	v_mul_f64 v[200:201], v[190:191], s[18:19]
	v_fma_f64 v[196:197], v[176:177], s[30:31], v[164:165]
	v_fma_f64 v[6:7], v[166:167], s[50:51], v[4:5]
	;; [unrolled: 1-line block ×3, first 2 shown]
	v_add_f64 v[154:155], v[0:1], v[154:155]
	v_fma_f64 v[202:203], v[178:179], s[16:17], v[200:201]
	v_add_f64 v[104:105], v[6:7], v[104:105]
	v_fma_f64 v[6:7], v[168:169], s[34:35], v[140:141]
	v_fma_f64 v[140:141], v[170:171], s[36:37], v[144:145]
	;; [unrolled: 1-line block ×4, first 2 shown]
	v_add_f64 v[152:153], v[152:153], v[154:155]
	v_mul_f64 v[158:159], v[186:187], s[26:27]
	v_add_f64 v[202:203], v[202:203], v[206:207]
	v_mul_f64 v[154:155], v[184:185], s[14:15]
	v_add_f64 v[150:151], v[150:151], v[152:153]
	v_fma_f64 v[160:161], v[174:175], s[52:53], v[158:159]
	v_add_f64 v[196:197], v[196:197], v[202:203]
	v_fma_f64 v[156:157], v[172:173], s[46:47], v[154:155]
	v_add_f64 v[148:149], v[148:149], v[150:151]
	v_add_f64 v[160:161], v[160:161], v[196:197]
	;; [unrolled: 1-line block ×3, first 2 shown]
	v_mul_f64 v[148:149], v[182:183], s[4:5]
	v_add_f64 v[156:157], v[156:157], v[160:161]
	v_add_f64 v[140:141], v[140:141], v[144:145]
	v_fma_f64 v[152:153], v[170:171], s[34:35], v[148:149]
	v_add_f64 v[6:7], v[6:7], v[140:141]
	v_mul_f64 v[140:141], v[180:181], s[38:39]
	v_add_f64 v[152:153], v[152:153], v[156:157]
	v_fma_f64 v[156:157], v[178:179], s[50:51], v[200:201]
	v_mul_f64 v[200:201], v[188:189], s[4:5]
	v_add_f64 v[150:151], v[4:5], v[6:7]
	v_fma_f64 v[144:145], v[168:169], s[56:57], v[140:141]
	v_mul_f64 v[4:5], v[162:163], s[6:7]
	v_fma_f64 v[202:203], v[176:177], s[44:45], v[200:201]
	v_add_f64 v[144:145], v[144:145], v[152:153]
	v_fma_f64 v[152:153], v[174:175], s[24:25], v[158:159]
	v_fma_f64 v[158:159], v[192:193], s[20:21], v[204:205]
	;; [unrolled: 1-line block ×3, first 2 shown]
	v_mul_f64 v[204:205], v[190:191], s[26:27]
	v_fma_f64 v[4:5], v[166:167], s[28:29], v[4:5]
	v_add_f64 v[158:159], v[0:1], v[158:159]
	v_add_f64 v[144:145], v[6:7], v[144:145]
	v_fma_f64 v[6:7], v[168:169], s[36:37], v[140:141]
	v_fma_f64 v[140:141], v[170:171], s[44:45], v[148:149]
	;; [unrolled: 1-line block ×5, first 2 shown]
	v_mul_f64 v[164:165], v[186:187], s[6:7]
	v_add_f64 v[156:157], v[156:157], v[158:159]
	v_mul_f64 v[158:159], v[184:185], s[38:39]
	v_add_f64 v[206:207], v[206:207], v[210:211]
	v_fma_f64 v[196:197], v[174:175], s[28:29], v[164:165]
	v_add_f64 v[154:155], v[154:155], v[156:157]
	v_fma_f64 v[160:161], v[172:173], s[56:57], v[158:159]
	v_add_f64 v[202:203], v[202:203], v[206:207]
	v_add_f64 v[152:153], v[152:153], v[154:155]
	v_mul_f64 v[154:155], v[182:183], s[14:15]
	v_add_f64 v[196:197], v[196:197], v[202:203]
	v_add_f64 v[148:149], v[148:149], v[152:153]
	v_fma_f64 v[156:157], v[170:171], s[46:47], v[154:155]
	v_add_f64 v[160:161], v[160:161], v[196:197]
	v_add_f64 v[140:141], v[140:141], v[148:149]
	v_mul_f64 v[148:149], v[180:181], s[8:9]
	v_add_f64 v[156:157], v[156:157], v[160:161]
	v_fma_f64 v[160:161], v[178:179], s[52:53], v[204:205]
	v_mul_f64 v[204:205], v[188:189], s[18:19]
	v_add_f64 v[6:7], v[6:7], v[140:141]
	v_fma_f64 v[140:141], v[168:169], s[30:31], v[148:149]
	v_fma_f64 v[206:207], v[176:177], s[16:17], v[204:205]
	v_add_f64 v[152:153], v[4:5], v[6:7]
	v_mul_f64 v[4:5], v[162:163], s[22:23]
	v_add_f64 v[140:141], v[140:141], v[156:157]
	v_fma_f64 v[156:157], v[174:175], s[48:49], v[164:165]
	v_fma_f64 v[164:165], v[192:193], s[16:17], v[208:209]
	v_mul_f64 v[208:209], v[190:191], s[38:39]
	v_fma_f64 v[6:7], v[166:167], s[54:55], v[4:5]
	v_fma_f64 v[4:5], v[166:167], s[20:21], v[4:5]
	v_add_f64 v[164:165], v[0:1], v[164:165]
	v_fma_f64 v[210:211], v[178:179], s[56:57], v[208:209]
	v_add_f64 v[140:141], v[6:7], v[140:141]
	v_fma_f64 v[6:7], v[168:169], s[42:43], v[148:149]
	v_fma_f64 v[148:149], v[170:171], s[40:41], v[154:155]
	;; [unrolled: 1-line block ×4, first 2 shown]
	v_add_f64 v[160:161], v[160:161], v[164:165]
	v_mul_f64 v[200:201], v[186:187], s[8:9]
	v_add_f64 v[210:211], v[210:211], v[214:215]
	v_mul_f64 v[164:165], v[184:185], s[6:7]
	v_add_f64 v[158:159], v[158:159], v[160:161]
	v_fma_f64 v[202:203], v[174:175], s[42:43], v[200:201]
	v_add_f64 v[206:207], v[206:207], v[210:211]
	v_fma_f64 v[196:197], v[172:173], s[28:29], v[164:165]
	v_add_f64 v[156:157], v[156:157], v[158:159]
	v_mul_f64 v[158:159], v[182:183], s[26:27]
	v_add_f64 v[202:203], v[202:203], v[206:207]
	v_add_f64 v[154:155], v[154:155], v[156:157]
	v_mul_f64 v[156:157], v[180:181], s[22:23]
	v_fma_f64 v[160:161], v[170:171], s[52:53], v[158:159]
	v_add_f64 v[196:197], v[196:197], v[202:203]
	v_add_f64 v[148:149], v[148:149], v[154:155]
	;; [unrolled: 1-line block ×3, first 2 shown]
	v_fma_f64 v[196:197], v[178:179], s[36:37], v[208:209]
	v_mul_f64 v[208:209], v[188:189], s[38:39]
	v_add_f64 v[6:7], v[6:7], v[148:149]
	v_fma_f64 v[148:149], v[168:169], s[20:21], v[156:157]
	v_fma_f64 v[210:211], v[176:177], s[36:37], v[208:209]
	v_add_f64 v[154:155], v[4:5], v[6:7]
	v_mul_f64 v[4:5], v[162:163], s[4:5]
	v_add_f64 v[148:149], v[148:149], v[160:161]
	v_fma_f64 v[160:161], v[174:175], s[30:31], v[200:201]
	v_fma_f64 v[200:201], v[192:193], s[46:47], v[212:213]
	v_mul_f64 v[212:213], v[190:191], s[22:23]
	v_fma_f64 v[6:7], v[166:167], s[44:45], v[4:5]
	v_fma_f64 v[4:5], v[166:167], s[34:35], v[4:5]
	v_add_f64 v[200:201], v[0:1], v[200:201]
	v_fma_f64 v[214:215], v[178:179], s[54:55], v[212:213]
	v_add_f64 v[148:149], v[6:7], v[148:149]
	v_fma_f64 v[6:7], v[168:169], s[54:55], v[156:157]
	v_fma_f64 v[156:157], v[170:171], s[24:25], v[158:159]
	;; [unrolled: 1-line block ×4, first 2 shown]
	v_add_f64 v[196:197], v[196:197], v[200:201]
	v_mul_f64 v[204:205], v[186:187], s[18:19]
	v_add_f64 v[214:215], v[214:215], v[218:219]
	v_mul_f64 v[200:201], v[184:185], s[4:5]
	v_add_f64 v[164:165], v[164:165], v[196:197]
	v_fma_f64 v[206:207], v[174:175], s[16:17], v[204:205]
	v_add_f64 v[210:211], v[210:211], v[214:215]
	v_fma_f64 v[202:203], v[172:173], s[44:45], v[200:201]
	v_add_f64 v[160:161], v[160:161], v[164:165]
	v_mul_f64 v[164:165], v[182:183], s[8:9]
	v_add_f64 v[206:207], v[206:207], v[210:211]
	v_add_f64 v[158:159], v[158:159], v[160:161]
	v_mul_f64 v[160:161], v[180:181], s[14:15]
	v_fma_f64 v[196:197], v[170:171], s[30:31], v[164:165]
	v_add_f64 v[202:203], v[202:203], v[206:207]
	v_add_f64 v[156:157], v[156:157], v[158:159]
	v_fma_f64 v[158:159], v[168:169], s[40:41], v[160:161]
	v_add_f64 v[196:197], v[196:197], v[202:203]
	v_fma_f64 v[202:203], v[178:179], s[20:21], v[212:213]
	v_mul_f64 v[212:213], v[188:189], s[22:23]
	v_mul_f64 v[188:189], v[188:189], s[6:7]
	v_add_f64 v[6:7], v[6:7], v[156:157]
	v_add_f64 v[158:159], v[158:159], v[196:197]
	v_fma_f64 v[196:197], v[174:175], s[50:51], v[204:205]
	v_fma_f64 v[204:205], v[192:193], s[48:49], v[216:217]
	v_mul_f64 v[216:217], v[190:191], s[14:15]
	v_fma_f64 v[214:215], v[176:177], s[54:55], v[212:213]
	v_mul_f64 v[190:191], v[190:191], s[4:5]
	v_add_f64 v[156:157], v[4:5], v[6:7]
	v_mul_f64 v[4:5], v[162:163], s[26:27]
	v_add_f64 v[204:205], v[0:1], v[204:205]
	v_fma_f64 v[218:219], v[178:179], s[40:41], v[216:217]
	v_fma_f64 v[6:7], v[166:167], s[52:53], v[4:5]
	;; [unrolled: 1-line block ×3, first 2 shown]
	v_add_f64 v[202:203], v[202:203], v[204:205]
	v_add_f64 v[218:219], v[218:219], v[222:223]
	v_mul_f64 v[204:205], v[184:185], s[26:27]
	v_mul_f64 v[184:185], v[184:185], s[18:19]
	v_add_f64 v[158:159], v[6:7], v[158:159]
	v_fma_f64 v[6:7], v[168:169], s[46:47], v[160:161]
	v_fma_f64 v[160:161], v[170:171], s[42:43], v[164:165]
	;; [unrolled: 1-line block ×4, first 2 shown]
	v_mul_f64 v[208:209], v[186:187], s[38:39]
	v_add_f64 v[214:215], v[214:215], v[218:219]
	v_fma_f64 v[206:207], v[172:173], s[24:25], v[204:205]
	v_mul_f64 v[186:187], v[186:187], s[14:15]
	v_add_f64 v[200:201], v[200:201], v[202:203]
	v_fma_f64 v[210:211], v[174:175], s[56:57], v[208:209]
	v_add_f64 v[196:197], v[196:197], v[200:201]
	v_mul_f64 v[200:201], v[182:183], s[18:19]
	v_add_f64 v[210:211], v[210:211], v[214:215]
	v_mul_f64 v[182:183], v[182:183], s[22:23]
	;; [unrolled: 2-line block ×3, first 2 shown]
	v_fma_f64 v[202:203], v[170:171], s[16:17], v[200:201]
	v_add_f64 v[206:207], v[206:207], v[210:211]
	v_fma_f64 v[210:211], v[192:193], s[30:31], v[194:195]
	v_mul_f64 v[180:181], v[180:181], s[26:27]
	v_add_f64 v[160:161], v[160:161], v[164:165]
	v_add_f64 v[202:203], v[202:203], v[206:207]
	v_fma_f64 v[206:207], v[178:179], s[46:47], v[216:217]
	v_add_f64 v[210:211], v[0:1], v[210:211]
	v_add_f64 v[6:7], v[6:7], v[160:161]
	v_fma_f64 v[160:161], v[168:169], s[48:49], v[196:197]
	v_add_f64 v[164:165], v[4:5], v[6:7]
	v_mul_f64 v[4:5], v[162:163], s[8:9]
	v_add_f64 v[160:161], v[160:161], v[202:203]
	v_fma_f64 v[202:203], v[174:175], s[36:37], v[208:209]
	v_fma_f64 v[208:209], v[192:193], s[44:45], v[220:221]
	;; [unrolled: 1-line block ×4, first 2 shown]
	v_add_f64 v[208:209], v[0:1], v[208:209]
	v_add_f64 v[160:161], v[6:7], v[160:161]
	v_fma_f64 v[6:7], v[168:169], s[28:29], v[196:197]
	v_fma_f64 v[196:197], v[170:171], s[50:51], v[200:201]
	;; [unrolled: 1-line block ×4, first 2 shown]
	v_add_f64 v[206:207], v[206:207], v[208:209]
	v_fma_f64 v[208:209], v[178:179], s[34:35], v[190:191]
	v_add_f64 v[204:205], v[204:205], v[206:207]
	v_fma_f64 v[206:207], v[176:177], s[28:29], v[188:189]
	v_add_f64 v[208:209], v[208:209], v[210:211]
	v_add_f64 v[202:203], v[202:203], v[204:205]
	v_fma_f64 v[204:205], v[174:175], s[40:41], v[186:187]
	v_add_f64 v[206:207], v[206:207], v[208:209]
	;; [unrolled: 3-line block ×4, first 2 shown]
	v_add_f64 v[6:7], v[6:7], v[196:197]
	v_add_f64 v[200:201], v[200:201], v[202:203]
	;; [unrolled: 1-line block ×3, first 2 shown]
	v_mul_f64 v[4:5], v[162:163], s[38:39]
	v_fma_f64 v[162:163], v[168:169], s[52:53], v[180:181]
	v_fma_f64 v[6:7], v[166:167], s[56:57], v[4:5]
	v_add_f64 v[162:163], v[162:163], v[200:201]
	v_fma_f64 v[4:5], v[166:167], s[36:37], v[4:5]
	v_fma_f64 v[166:167], v[170:171], s[20:21], v[182:183]
	;; [unrolled: 1-line block ×4, first 2 shown]
	v_add_f64 v[162:163], v[6:7], v[162:163]
	v_fma_f64 v[6:7], v[168:169], s[24:25], v[180:181]
	v_fma_f64 v[168:169], v[172:173], s[16:17], v[184:185]
	;; [unrolled: 1-line block ×4, first 2 shown]
	v_add_f64 v[176:177], v[0:1], v[176:177]
	v_add_f64 v[0:1], v[24:25], v[0:1]
	;; [unrolled: 1-line block ×16, first 2 shown]
	v_add_nc_u32_e32 v6, 0x1b18, v199
	v_add_f64 v[0:1], v[12:13], v[0:1]
	v_add_f64 v[0:1], v[48:49], v[0:1]
	;; [unrolled: 1-line block ×8, first 2 shown]
	ds_write2_b64 v6, v[0:1], v[4:5] offset1:1
	v_add_nc_u32_e32 v0, 0x1b28, v199
	ds_write2_b64 v0, v[196:197], v[164:165] offset1:1
	v_add_nc_u32_e32 v0, 0x1b38, v199
	;; [unrolled: 2-line block ×7, first 2 shown]
	ds_write2_b64 v0, v[158:159], v[160:161] offset1:1
	ds_write_b64 v199, v[162:163] offset:7064
.LBB0_17:
	s_or_b32 exec_lo, exec_lo, s1
	v_add_f64 v[0:1], v[118:119], v[106:107]
	v_add_f64 v[4:5], v[116:117], -v[132:133]
	v_add_f64 v[96:97], v[96:97], -v[112:113]
	;; [unrolled: 1-line block ×4, first 2 shown]
	s_waitcnt lgkmcnt(0)
	s_waitcnt_vscnt null, 0x0
	s_barrier
	buffer_gl0_inv
	v_add_f64 v[0:1], v[122:123], v[0:1]
	v_mul_f64 v[6:7], v[4:5], s[42:43]
	v_mul_f64 v[116:117], v[4:5], s[44:45]
	;; [unrolled: 1-line block ×9, first 2 shown]
	v_add_f64 v[0:1], v[110:111], v[0:1]
	v_add_f64 v[0:1], v[98:99], v[0:1]
	v_add_f64 v[0:1], v[94:95], v[0:1]
	v_add_f64 v[0:1], v[86:87], v[0:1]
	v_add_f64 v[0:1], v[78:79], v[0:1]
	v_add_f64 v[0:1], v[70:71], v[0:1]
	v_add_f64 v[0:1], v[74:75], v[0:1]
	v_add_f64 v[0:1], v[82:83], v[0:1]
	v_add_f64 v[0:1], v[90:91], v[0:1]
	v_add_f64 v[0:1], v[102:103], v[0:1]
	v_add_f64 v[0:1], v[114:115], v[0:1]
	v_add_f64 v[0:1], v[126:127], v[0:1]
	v_add_f64 v[0:1], v[130:131], v[0:1]
	v_add_f64 v[140:141], v[134:135], v[0:1]
	v_add_f64 v[0:1], v[134:135], v[118:119]
	v_fma_f64 v[104:105], v[0:1], s[8:9], -v[6:7]
	v_fma_f64 v[6:7], v[0:1], s[8:9], v[6:7]
	v_fma_f64 v[118:119], v[0:1], s[4:5], -v[116:117]
	v_fma_f64 v[116:117], v[0:1], s[4:5], v[116:117]
	;; [unrolled: 2-line block ×8, first 2 shown]
	v_add_f64 v[4:5], v[130:131], v[122:123]
	v_add_f64 v[104:105], v[106:107], v[104:105]
	v_add_f64 v[6:7], v[106:107], v[6:7]
	v_add_f64 v[118:119], v[106:107], v[118:119]
	v_add_f64 v[116:117], v[106:107], v[116:117]
	v_add_f64 v[134:135], v[106:107], v[134:135]
	v_add_f64 v[132:133], v[106:107], v[132:133]
	v_add_f64 v[144:145], v[106:107], v[144:145]
	v_add_f64 v[142:143], v[106:107], v[142:143]
	v_add_f64 v[148:149], v[106:107], v[148:149]
	v_add_f64 v[146:147], v[106:107], v[146:147]
	v_add_f64 v[152:153], v[106:107], v[152:153]
	v_add_f64 v[150:151], v[106:107], v[150:151]
	v_add_f64 v[156:157], v[106:107], v[156:157]
	v_add_f64 v[154:155], v[106:107], v[154:155]
	v_add_f64 v[158:159], v[106:107], v[158:159]
	v_add_f64 v[0:1], v[106:107], v[0:1]
	v_add_f64 v[106:107], v[120:121], -v[128:129]
	v_mul_f64 v[120:121], v[106:107], s[44:45]
	v_mul_f64 v[128:129], v[106:107], s[36:37]
	v_fma_f64 v[122:123], v[4:5], s[4:5], -v[120:121]
	v_fma_f64 v[120:121], v[4:5], s[4:5], v[120:121]
	v_fma_f64 v[130:131], v[4:5], s[38:39], -v[128:129]
	v_fma_f64 v[128:129], v[4:5], s[38:39], v[128:129]
	v_add_f64 v[104:105], v[122:123], v[104:105]
	v_add_f64 v[6:7], v[120:121], v[6:7]
	v_mul_f64 v[120:121], v[106:107], s[46:47]
	v_add_f64 v[128:129], v[128:129], v[142:143]
	v_mul_f64 v[142:143], v[106:107], s[50:51]
	v_add_f64 v[130:131], v[130:131], v[144:145]
	v_fma_f64 v[122:123], v[4:5], s[14:15], -v[120:121]
	v_fma_f64 v[120:121], v[4:5], s[14:15], v[120:121]
	v_fma_f64 v[144:145], v[4:5], s[18:19], -v[142:143]
	v_fma_f64 v[142:143], v[4:5], s[18:19], v[142:143]
	v_add_f64 v[118:119], v[122:123], v[118:119]
	v_add_f64 v[116:117], v[120:121], v[116:117]
	v_mul_f64 v[120:121], v[106:107], s[20:21]
	v_add_f64 v[142:143], v[142:143], v[150:151]
	v_add_f64 v[144:145], v[144:145], v[152:153]
	v_fma_f64 v[122:123], v[4:5], s[22:23], -v[120:121]
	v_fma_f64 v[120:121], v[4:5], s[22:23], v[120:121]
	v_add_f64 v[122:123], v[122:123], v[134:135]
	v_add_f64 v[120:121], v[120:121], v[132:133]
	v_mul_f64 v[132:133], v[106:107], s[52:53]
	v_fma_f64 v[134:135], v[4:5], s[26:27], -v[132:133]
	v_fma_f64 v[132:133], v[4:5], s[26:27], v[132:133]
	v_add_f64 v[134:135], v[134:135], v[148:149]
	v_add_f64 v[132:133], v[132:133], v[146:147]
	v_mul_f64 v[146:147], v[106:107], s[28:29]
	v_mul_f64 v[106:107], v[106:107], s[30:31]
	v_fma_f64 v[148:149], v[4:5], s[6:7], -v[146:147]
	v_fma_f64 v[146:147], v[4:5], s[6:7], v[146:147]
	v_fma_f64 v[150:151], v[4:5], s[8:9], -v[106:107]
	v_fma_f64 v[4:5], v[4:5], s[8:9], v[106:107]
	v_add_f64 v[106:107], v[108:109], -v[124:125]
	v_add_f64 v[148:149], v[148:149], v[156:157]
	v_add_f64 v[146:147], v[146:147], v[154:155]
	;; [unrolled: 1-line block ×5, first 2 shown]
	v_mul_f64 v[108:109], v[106:107], s[48:49]
	v_mul_f64 v[124:125], v[106:107], s[34:35]
	v_add_nc_u32_e32 v158, 51, v198
	v_fma_f64 v[110:111], v[4:5], s[6:7], -v[108:109]
	v_fma_f64 v[108:109], v[4:5], s[6:7], v[108:109]
	v_fma_f64 v[126:127], v[4:5], s[4:5], -v[124:125]
	v_fma_f64 v[124:125], v[4:5], s[4:5], v[124:125]
	v_add_f64 v[104:105], v[110:111], v[104:105]
	v_add_f64 v[6:7], v[108:109], v[6:7]
	v_mul_f64 v[108:109], v[106:107], s[20:21]
	v_add_f64 v[124:125], v[124:125], v[132:133]
	v_mul_f64 v[132:133], v[106:107], s[46:47]
	v_add_f64 v[126:127], v[126:127], v[134:135]
	v_fma_f64 v[110:111], v[4:5], s[22:23], -v[108:109]
	v_fma_f64 v[108:109], v[4:5], s[22:23], v[108:109]
	v_fma_f64 v[134:135], v[4:5], s[14:15], -v[132:133]
	v_fma_f64 v[132:133], v[4:5], s[14:15], v[132:133]
	v_add_f64 v[110:111], v[110:111], v[118:119]
	v_add_f64 v[108:109], v[108:109], v[116:117]
	v_mul_f64 v[116:117], v[106:107], s[56:57]
	v_add_f64 v[132:133], v[132:133], v[146:147]
	v_add_f64 v[134:135], v[134:135], v[148:149]
	v_fma_f64 v[118:119], v[4:5], s[38:39], -v[116:117]
	v_fma_f64 v[116:117], v[4:5], s[38:39], v[116:117]
	v_add_f64 v[118:119], v[118:119], v[122:123]
	v_add_f64 v[116:117], v[116:117], v[120:121]
	v_mul_f64 v[120:121], v[106:107], s[50:51]
	v_fma_f64 v[122:123], v[4:5], s[18:19], -v[120:121]
	v_fma_f64 v[120:121], v[4:5], s[18:19], v[120:121]
	v_add_f64 v[122:123], v[122:123], v[130:131]
	v_add_f64 v[120:121], v[120:121], v[128:129]
	v_mul_f64 v[128:129], v[106:107], s[42:43]
	v_mul_f64 v[106:107], v[106:107], s[24:25]
	v_fma_f64 v[130:131], v[4:5], s[8:9], -v[128:129]
	v_fma_f64 v[128:129], v[4:5], s[8:9], v[128:129]
	v_add_f64 v[130:131], v[130:131], v[144:145]
	v_add_f64 v[128:129], v[128:129], v[142:143]
	v_fma_f64 v[142:143], v[4:5], s[26:27], -v[106:107]
	v_fma_f64 v[4:5], v[4:5], s[26:27], v[106:107]
	v_add_f64 v[142:143], v[142:143], v[150:151]
	v_add_f64 v[0:1], v[4:5], v[0:1]
	;; [unrolled: 1-line block ×3, first 2 shown]
	v_mul_f64 v[98:99], v[96:97], s[46:47]
	v_fma_f64 v[114:115], v[4:5], s[8:9], -v[112:113]
	v_fma_f64 v[106:107], v[4:5], s[14:15], -v[98:99]
	v_fma_f64 v[98:99], v[4:5], s[14:15], v[98:99]
	v_fma_f64 v[112:113], v[4:5], s[8:9], v[112:113]
	v_add_f64 v[114:115], v[114:115], v[122:123]
	v_add_f64 v[104:105], v[106:107], v[104:105]
	;; [unrolled: 1-line block ×3, first 2 shown]
	v_mul_f64 v[98:99], v[96:97], s[36:37]
	v_add_f64 v[112:113], v[112:113], v[120:121]
	v_mul_f64 v[120:121], v[96:97], s[24:25]
	v_fma_f64 v[106:107], v[4:5], s[38:39], -v[98:99]
	v_fma_f64 v[98:99], v[4:5], s[38:39], v[98:99]
	v_fma_f64 v[122:123], v[4:5], s[26:27], -v[120:121]
	v_fma_f64 v[120:121], v[4:5], s[26:27], v[120:121]
	v_add_f64 v[106:107], v[106:107], v[110:111]
	v_add_f64 v[98:99], v[98:99], v[108:109]
	v_mul_f64 v[108:109], v[96:97], s[50:51]
	v_add_f64 v[120:121], v[120:121], v[128:129]
	v_add_f64 v[122:123], v[122:123], v[130:131]
	v_fma_f64 v[110:111], v[4:5], s[18:19], -v[108:109]
	v_fma_f64 v[108:109], v[4:5], s[18:19], v[108:109]
	v_add_f64 v[110:111], v[110:111], v[118:119]
	v_add_f64 v[108:109], v[108:109], v[116:117]
	v_mul_f64 v[116:117], v[96:97], s[48:49]
	v_fma_f64 v[118:119], v[4:5], s[6:7], -v[116:117]
	v_fma_f64 v[116:117], v[4:5], s[6:7], v[116:117]
	v_add_f64 v[118:119], v[118:119], v[126:127]
	v_add_f64 v[116:117], v[116:117], v[124:125]
	v_mul_f64 v[124:125], v[96:97], s[54:55]
	v_mul_f64 v[96:97], v[96:97], s[34:35]
	v_fma_f64 v[126:127], v[4:5], s[22:23], -v[124:125]
	v_fma_f64 v[124:125], v[4:5], s[22:23], v[124:125]
	v_fma_f64 v[128:129], v[4:5], s[4:5], -v[96:97]
	v_fma_f64 v[4:5], v[4:5], s[4:5], v[96:97]
	v_add_f64 v[126:127], v[126:127], v[134:135]
	v_add_f64 v[124:125], v[124:125], v[132:133]
	;; [unrolled: 1-line block ×5, first 2 shown]
	v_mul_f64 v[94:95], v[92:93], s[16:17]
	v_fma_f64 v[96:97], v[4:5], s[18:19], -v[94:95]
	v_fma_f64 v[94:95], v[4:5], s[18:19], v[94:95]
	v_add_f64 v[96:97], v[96:97], v[104:105]
	v_add_f64 v[6:7], v[94:95], v[6:7]
	v_mul_f64 v[94:95], v[92:93], s[52:53]
	v_mul_f64 v[104:105], v[92:93], s[48:49]
	v_fma_f64 v[100:101], v[4:5], s[26:27], -v[94:95]
	v_fma_f64 v[94:95], v[4:5], s[26:27], v[94:95]
	v_add_f64 v[100:101], v[100:101], v[106:107]
	v_add_f64 v[94:95], v[94:95], v[98:99]
	v_mul_f64 v[98:99], v[92:93], s[34:35]
	v_fma_f64 v[106:107], v[4:5], s[6:7], -v[104:105]
	v_fma_f64 v[104:105], v[4:5], s[6:7], v[104:105]
	v_fma_f64 v[102:103], v[4:5], s[4:5], -v[98:99]
	v_fma_f64 v[98:99], v[4:5], s[4:5], v[98:99]
	v_add_f64 v[104:105], v[104:105], v[112:113]
	v_mul_f64 v[112:113], v[92:93], s[40:41]
	v_add_f64 v[106:107], v[106:107], v[114:115]
	v_add_f64 v[102:103], v[102:103], v[110:111]
	;; [unrolled: 1-line block ×3, first 2 shown]
	v_mul_f64 v[108:109], v[92:93], s[36:37]
	v_fma_f64 v[114:115], v[4:5], s[14:15], -v[112:113]
	v_fma_f64 v[112:113], v[4:5], s[14:15], v[112:113]
	v_fma_f64 v[110:111], v[4:5], s[38:39], -v[108:109]
	v_fma_f64 v[108:109], v[4:5], s[38:39], v[108:109]
	v_add_f64 v[112:113], v[112:113], v[120:121]
	v_add_f64 v[114:115], v[114:115], v[122:123]
	;; [unrolled: 1-line block ×5, first 2 shown]
	v_mul_f64 v[116:117], v[92:93], s[42:43]
	v_mul_f64 v[92:93], v[92:93], s[20:21]
	v_fma_f64 v[118:119], v[4:5], s[8:9], -v[116:117]
	v_fma_f64 v[116:117], v[4:5], s[8:9], v[116:117]
	v_fma_f64 v[120:121], v[4:5], s[22:23], -v[92:93]
	v_fma_f64 v[4:5], v[4:5], s[22:23], v[92:93]
	v_mul_f64 v[92:93], v[84:85], s[42:43]
	v_add_f64 v[118:119], v[118:119], v[126:127]
	v_add_f64 v[116:117], v[116:117], v[124:125]
	v_add_f64 v[124:125], v[76:77], -v[80:81]
	v_add_f64 v[0:1], v[4:5], v[0:1]
	v_add_f64 v[4:5], v[90:91], v[86:87]
	v_mul_f64 v[86:87], v[84:85], s[20:21]
	v_add_f64 v[120:121], v[120:121], v[128:129]
	v_fma_f64 v[88:89], v[4:5], s[22:23], -v[86:87]
	v_fma_f64 v[86:87], v[4:5], s[22:23], v[86:87]
	v_add_f64 v[88:89], v[88:89], v[96:97]
	v_add_f64 v[6:7], v[86:87], v[6:7]
	v_mul_f64 v[86:87], v[84:85], s[50:51]
	v_mul_f64 v[96:97], v[84:85], s[24:25]
	v_fma_f64 v[90:91], v[4:5], s[18:19], -v[86:87]
	v_fma_f64 v[86:87], v[4:5], s[18:19], v[86:87]
	v_add_f64 v[90:91], v[90:91], v[100:101]
	v_add_f64 v[86:87], v[86:87], v[94:95]
	v_fma_f64 v[94:95], v[4:5], s[8:9], -v[92:93]
	v_fma_f64 v[92:93], v[4:5], s[8:9], v[92:93]
	v_add_f64 v[94:95], v[94:95], v[102:103]
	v_add_f64 v[92:93], v[92:93], v[98:99]
	v_fma_f64 v[98:99], v[4:5], s[26:27], -v[96:97]
	v_fma_f64 v[96:97], v[4:5], s[26:27], v[96:97]
	v_add_f64 v[106:107], v[98:99], v[106:107]
	v_mul_f64 v[98:99], v[84:85], s[40:41]
	v_add_f64 v[96:97], v[96:97], v[104:105]
	v_fma_f64 v[100:101], v[4:5], s[14:15], -v[98:99]
	v_fma_f64 v[98:99], v[4:5], s[14:15], v[98:99]
	v_add_f64 v[110:111], v[100:101], v[110:111]
	v_add_f64 v[108:109], v[98:99], v[108:109]
	v_mul_f64 v[98:99], v[84:85], s[44:45]
	v_fma_f64 v[100:101], v[4:5], s[4:5], -v[98:99]
	v_fma_f64 v[98:99], v[4:5], s[4:5], v[98:99]
	v_add_f64 v[114:115], v[100:101], v[114:115]
	v_add_f64 v[112:113], v[98:99], v[112:113]
	v_mul_f64 v[98:99], v[84:85], s[36:37]
	v_mul_f64 v[84:85], v[84:85], s[28:29]
	v_fma_f64 v[100:101], v[4:5], s[38:39], -v[98:99]
	v_fma_f64 v[98:99], v[4:5], s[38:39], v[98:99]
	v_add_f64 v[118:119], v[100:101], v[118:119]
	v_add_f64 v[116:117], v[98:99], v[116:117]
	v_fma_f64 v[98:99], v[4:5], s[6:7], -v[84:85]
	v_fma_f64 v[4:5], v[4:5], s[6:7], v[84:85]
	v_add_f64 v[120:121], v[98:99], v[120:121]
	v_add_f64 v[4:5], v[4:5], v[0:1]
	v_mul_f64 v[0:1], v[124:125], s[24:25]
	v_fma_f64 v[76:77], v[122:123], s[26:27], -v[0:1]
	v_fma_f64 v[0:1], v[122:123], s[26:27], v[0:1]
	v_add_f64 v[102:103], v[76:77], v[88:89]
	v_add_f64 v[104:105], v[0:1], v[6:7]
	v_mul_f64 v[0:1], v[124:125], s[28:29]
	v_fma_f64 v[6:7], v[122:123], s[6:7], -v[0:1]
	v_fma_f64 v[0:1], v[122:123], s[6:7], v[0:1]
	v_add_f64 v[98:99], v[6:7], v[90:91]
	v_mul_f64 v[6:7], v[124:125], s[46:47]
	v_add_f64 v[100:101], v[0:1], v[86:87]
	v_fma_f64 v[0:1], v[122:123], s[14:15], -v[6:7]
	v_fma_f64 v[6:7], v[122:123], s[14:15], v[6:7]
	v_add_f64 v[0:1], v[0:1], v[94:95]
	v_add_f64 v[76:77], v[6:7], v[92:93]
	v_mul_f64 v[6:7], v[124:125], s[54:55]
	v_fma_f64 v[78:79], v[122:123], s[22:23], -v[6:7]
	v_fma_f64 v[6:7], v[122:123], s[22:23], v[6:7]
	v_add_f64 v[78:79], v[78:79], v[106:107]
	v_add_f64 v[80:81], v[6:7], v[96:97]
	v_mul_f64 v[6:7], v[124:125], s[42:43]
	;; [unrolled: 5-line block ×5, first 2 shown]
	v_fma_f64 v[94:95], v[122:123], s[18:19], -v[6:7]
	v_fma_f64 v[6:7], v[122:123], s[18:19], v[6:7]
	v_add_f64 v[94:95], v[94:95], v[120:121]
	v_add_f64 v[96:97], v[6:7], v[4:5]
	v_add_f64 v[6:7], v[68:69], -v[72:73]
	v_add_f64 v[4:5], v[74:75], v[70:71]
	v_mul_f64 v[68:69], v[6:7], s[36:37]
	v_fma_f64 v[70:71], v[4:5], s[38:39], -v[68:69]
	v_fma_f64 v[68:69], v[4:5], s[38:39], v[68:69]
	v_add_f64 v[134:135], v[70:71], v[102:103]
	v_add_f64 v[120:121], v[68:69], v[104:105]
	v_mul_f64 v[68:69], v[6:7], s[30:31]
	v_fma_f64 v[70:71], v[4:5], s[8:9], -v[68:69]
	v_fma_f64 v[68:69], v[4:5], s[8:9], v[68:69]
	v_add_f64 v[154:155], v[70:71], v[98:99]
	v_add_f64 v[122:123], v[68:69], v[100:101]
	v_mul_f64 v[68:69], v[6:7], s[24:25]
	v_fma_f64 v[70:71], v[4:5], s[26:27], -v[68:69]
	v_add_f64 v[156:157], v[70:71], v[0:1]
	v_fma_f64 v[0:1], v[4:5], s[26:27], v[68:69]
	v_add_f64 v[124:125], v[0:1], v[76:77]
	v_mul_f64 v[0:1], v[6:7], s[34:35]
	v_fma_f64 v[68:69], v[4:5], s[4:5], -v[0:1]
	v_fma_f64 v[0:1], v[4:5], s[4:5], v[0:1]
	v_add_f64 v[150:151], v[68:69], v[78:79]
	v_add_f64 v[126:127], v[0:1], v[80:81]
	v_mul_f64 v[0:1], v[6:7], s[20:21]
	v_fma_f64 v[68:69], v[4:5], s[22:23], -v[0:1]
	v_fma_f64 v[0:1], v[4:5], s[22:23], v[0:1]
	v_add_f64 v[152:153], v[68:69], v[82:83]
	;; [unrolled: 5-line block ×5, first 2 shown]
	v_add_f64 v[144:145], v[0:1], v[96:97]
	v_lshlrev_b32_e32 v0, 7, v198
	v_sub_nc_u32_e32 v159, v199, v0
	v_add_nc_u32_e32 v160, 0x800, v159
	v_add_nc_u32_e32 v161, 0x1800, v159
	;; [unrolled: 1-line block ×6, first 2 shown]
	ds_read2_b64 v[72:75], v159 offset1:51
	ds_read2_b64 v[68:71], v160 offset0:152 offset1:203
	ds_read2_b64 v[104:107], v161 offset0:150 offset1:201
	;; [unrolled: 1-line block ×12, first 2 shown]
	ds_read_b64 v[0:1], v159 offset:10608
	s_waitcnt lgkmcnt(0)
	s_barrier
	buffer_gl0_inv
	ds_write2_b64 v199, v[140:141], v[134:135] offset1:1
	ds_write2_b64 v199, v[154:155], v[156:157] offset0:2 offset1:3
	ds_write2_b64 v199, v[150:151], v[152:153] offset0:4 offset1:5
	;; [unrolled: 1-line block ×7, first 2 shown]
	ds_write_b64 v199, v[120:121] offset:128
	s_and_saveexec_b32 s33, s0
	s_cbranch_execz .LBB0_19
; %bb.18:
	s_clause 0x3
	buffer_load_dword v122, off, s[60:63], 0
	buffer_load_dword v123, off, s[60:63], 0 offset:4
	buffer_load_dword v124, off, s[60:63], 0 offset:8
	;; [unrolled: 1-line block ×3, first 2 shown]
	v_add_f64 v[4:5], v[26:27], v[2:3]
	v_add_f64 v[16:17], v[24:25], -v[16:17]
	s_mov_b32 s20, 0x5d8e7cdc
	s_mov_b32 s24, 0x2a9d6da3
	;; [unrolled: 1-line block ×16, first 2 shown]
	v_add_f64 v[44:45], v[44:45], -v[48:49]
	v_add_f64 v[40:41], v[40:41], -v[52:53]
	;; [unrolled: 1-line block ×3, first 2 shown]
	v_add_f64 v[26:27], v[18:19], v[26:27]
	v_add_f64 v[8:9], v[8:9], -v[12:13]
	v_mul_f64 v[12:13], v[16:17], s[24:25]
	v_mul_f64 v[32:33], v[16:17], s[26:27]
	;; [unrolled: 1-line block ×4, first 2 shown]
	s_mov_b32 s6, 0x75d4884
	s_mov_b32 s4, 0x2b2883cd
	;; [unrolled: 1-line block ×14, first 2 shown]
	v_add_f64 v[36:37], v[36:37], -v[56:57]
	v_add_f64 v[28:29], v[28:29], -v[64:65]
	s_mov_b32 s51, 0x3fe0d888
	s_mov_b32 s49, 0x3feec746
	v_fma_f64 v[56:57], v[26:27], s[6:7], -v[12:13]
	v_fma_f64 v[12:13], v[26:27], s[6:7], v[12:13]
	v_fma_f64 v[60:61], v[26:27], s[0:1], -v[48:49]
	v_fma_f64 v[48:49], v[26:27], s[0:1], v[48:49]
	;; [unrolled: 2-line block ×3, first 2 shown]
	s_mov_b32 s50, s18
	s_mov_b32 s48, s14
	;; [unrolled: 1-line block ×12, first 2 shown]
	v_add_f64 v[12:13], v[2:3], v[12:13]
	v_add_f64 v[48:49], v[2:3], v[48:49]
	;; [unrolled: 1-line block ×3, first 2 shown]
	s_waitcnt vmcnt(0)
	v_add_f64 v[4:5], v[124:125], v[4:5]
	v_add_f64 v[24:25], v[22:23], v[124:125]
	v_add_f64 v[20:21], v[122:123], -v[20:21]
	v_add_f64 v[4:5], v[30:31], v[4:5]
	v_add_f64 v[30:31], v[66:67], v[30:31]
	v_mul_f64 v[122:123], v[20:21], s[38:39]
	v_mul_f64 v[124:125], v[20:21], s[50:51]
	;; [unrolled: 1-line block ×4, first 2 shown]
	v_add_f64 v[4:5], v[34:35], v[4:5]
	v_add_f64 v[34:35], v[62:63], v[34:35]
	v_fma_f64 v[140:141], v[24:25], s[28:29], -v[122:123]
	v_fma_f64 v[142:143], v[24:25], s[36:37], -v[124:125]
	;; [unrolled: 1-line block ×3, first 2 shown]
	v_fma_f64 v[122:123], v[24:25], s[28:29], v[122:123]
	v_fma_f64 v[124:125], v[24:25], s[36:37], v[124:125]
	;; [unrolled: 1-line block ×3, first 2 shown]
	v_fma_f64 v[146:147], v[24:25], s[4:5], -v[128:129]
	v_fma_f64 v[128:129], v[24:25], s[4:5], v[128:129]
	v_add_f64 v[4:5], v[38:39], v[4:5]
	v_add_f64 v[38:39], v[58:59], v[38:39]
	;; [unrolled: 1-line block ×3, first 2 shown]
	v_mul_f64 v[122:123], v[28:29], s[44:45]
	v_add_f64 v[52:53], v[126:127], v[52:53]
	v_mul_f64 v[126:127], v[28:29], s[22:23]
	v_add_f64 v[4:5], v[42:43], v[4:5]
	v_add_f64 v[42:43], v[54:55], v[42:43]
	v_fma_f64 v[150:151], v[30:31], s[0:1], -v[126:127]
	v_fma_f64 v[126:127], v[30:31], s[0:1], v[126:127]
	v_add_f64 v[120:121], v[46:47], v[4:5]
	v_add_f64 v[46:47], v[50:51], v[46:47]
	;; [unrolled: 1-line block ×5, first 2 shown]
	v_mul_f64 v[14:15], v[16:17], s[20:21]
	v_add_f64 v[4:5], v[50:51], v[4:5]
	v_mul_f64 v[50:51], v[16:17], s[14:15]
	v_add_f64 v[4:5], v[54:55], v[4:5]
	v_fma_f64 v[54:55], v[26:27], s[8:9], -v[14:15]
	v_fma_f64 v[14:15], v[26:27], s[8:9], v[14:15]
	v_add_f64 v[4:5], v[58:59], v[4:5]
	v_fma_f64 v[58:59], v[26:27], s[4:5], -v[32:33]
	v_fma_f64 v[32:33], v[26:27], s[4:5], v[32:33]
	v_add_f64 v[14:15], v[2:3], v[14:15]
	v_add_f64 v[4:5], v[62:63], v[4:5]
	v_fma_f64 v[62:63], v[26:27], s[30:31], -v[50:51]
	v_fma_f64 v[50:51], v[26:27], s[30:31], v[50:51]
	v_add_f64 v[32:33], v[2:3], v[32:33]
	v_add_f64 v[4:5], v[66:67], v[4:5]
	;; [unrolled: 1-line block ×4, first 2 shown]
	v_mul_f64 v[22:23], v[16:17], s[18:19]
	v_mul_f64 v[16:17], v[16:17], s[38:39]
	v_add_f64 v[50:51], v[124:125], v[50:51]
	v_mul_f64 v[124:125], v[28:29], s[20:21]
	v_add_f64 v[4:5], v[18:19], v[4:5]
	v_fma_f64 v[66:67], v[26:27], s[36:37], -v[22:23]
	v_fma_f64 v[22:23], v[26:27], s[36:37], v[22:23]
	v_fma_f64 v[120:121], v[26:27], s[28:29], -v[16:17]
	v_fma_f64 v[16:17], v[26:27], s[28:29], v[16:17]
	v_add_f64 v[26:27], v[2:3], v[54:55]
	v_add_f64 v[54:55], v[2:3], v[56:57]
	;; [unrolled: 1-line block ×6, first 2 shown]
	v_mul_f64 v[18:19], v[20:21], s[22:23]
	v_add_f64 v[64:65], v[2:3], v[66:67]
	v_add_f64 v[22:23], v[2:3], v[22:23]
	v_add_f64 v[66:67], v[2:3], v[120:121]
	v_add_f64 v[2:3], v[2:3], v[16:17]
	v_mul_f64 v[16:17], v[20:21], s[24:25]
	v_mul_f64 v[120:121], v[20:21], s[16:17]
	;; [unrolled: 1-line block ×3, first 2 shown]
	v_fma_f64 v[132:133], v[24:25], s[0:1], -v[18:19]
	v_fma_f64 v[18:19], v[24:25], s[0:1], v[18:19]
	v_add_f64 v[22:23], v[128:129], v[22:23]
	v_fma_f64 v[130:131], v[24:25], s[6:7], -v[16:17]
	v_fma_f64 v[16:17], v[24:25], s[6:7], v[16:17]
	v_fma_f64 v[134:135], v[24:25], s[34:35], -v[120:121]
	v_fma_f64 v[120:121], v[24:25], s[34:35], v[120:121]
	;; [unrolled: 2-line block ×3, first 2 shown]
	v_add_f64 v[12:13], v[18:19], v[12:13]
	v_add_f64 v[22:23], v[126:127], v[22:23]
	;; [unrolled: 1-line block ×10, first 2 shown]
	v_mul_f64 v[58:59], v[28:29], s[26:27]
	v_mul_f64 v[60:61], v[28:29], s[16:17]
	;; [unrolled: 1-line block ×5, first 2 shown]
	v_fma_f64 v[142:143], v[30:31], s[6:7], -v[122:123]
	v_fma_f64 v[122:123], v[30:31], s[6:7], v[122:123]
	v_fma_f64 v[144:145], v[30:31], s[8:9], -v[124:125]
	v_fma_f64 v[124:125], v[30:31], s[8:9], v[124:125]
	v_add_f64 v[2:3], v[20:21], v[2:3]
	s_mov_b32 s47, 0x3fefdd0d
	s_mov_b32 s46, s22
	v_fma_f64 v[130:131], v[30:31], s[4:5], -v[58:59]
	v_fma_f64 v[58:59], v[30:31], s[4:5], v[58:59]
	v_fma_f64 v[132:133], v[30:31], s[34:35], -v[60:61]
	v_fma_f64 v[60:61], v[30:31], s[34:35], v[60:61]
	;; [unrolled: 2-line block ×5, first 2 shown]
	v_add_f64 v[30:31], v[146:147], v[64:65]
	v_add_f64 v[64:65], v[148:149], v[66:67]
	v_mul_f64 v[66:67], v[6:7], s[26:27]
	v_add_f64 v[50:51], v[122:123], v[50:51]
	v_mul_f64 v[122:123], v[6:7], s[52:53]
	v_add_f64 v[52:53], v[124:125], v[52:53]
	v_add_f64 v[20:21], v[130:131], v[24:25]
	;; [unrolled: 1-line block ×3, first 2 shown]
	v_mul_f64 v[58:59], v[6:7], s[38:39]
	v_add_f64 v[12:13], v[60:61], v[12:13]
	v_mul_f64 v[60:61], v[6:7], s[48:49]
	v_add_f64 v[24:25], v[62:63], v[26:27]
	v_add_f64 v[26:27], v[140:141], v[32:33]
	;; [unrolled: 1-line block ×3, first 2 shown]
	v_mul_f64 v[62:63], v[6:7], s[42:43]
	v_mul_f64 v[120:121], v[6:7], s[18:19]
	v_add_f64 v[16:17], v[132:133], v[16:17]
	v_add_f64 v[18:19], v[134:135], v[18:19]
	;; [unrolled: 1-line block ×4, first 2 shown]
	v_mul_f64 v[56:57], v[6:7], s[22:23]
	v_mul_f64 v[6:7], v[6:7], s[44:45]
	v_fma_f64 v[134:135], v[34:35], s[4:5], -v[66:67]
	v_fma_f64 v[66:67], v[34:35], s[4:5], v[66:67]
	v_fma_f64 v[142:143], v[34:35], s[34:35], -v[122:123]
	v_fma_f64 v[122:123], v[34:35], s[34:35], v[122:123]
	v_add_f64 v[2:3], v[28:29], v[2:3]
	v_add_f64 v[30:31], v[150:151], v[30:31]
	v_fma_f64 v[128:129], v[34:35], s[28:29], -v[58:59]
	v_fma_f64 v[58:59], v[34:35], s[28:29], v[58:59]
	v_fma_f64 v[130:131], v[34:35], s[30:31], -v[60:61]
	v_fma_f64 v[60:61], v[34:35], s[30:31], v[60:61]
	v_fma_f64 v[132:133], v[34:35], s[8:9], -v[62:63]
	v_fma_f64 v[62:63], v[34:35], s[8:9], v[62:63]
	v_fma_f64 v[140:141], v[34:35], s[36:37], -v[120:121]
	v_fma_f64 v[120:121], v[34:35], s[36:37], v[120:121]
	v_fma_f64 v[124:125], v[34:35], s[0:1], -v[56:57]
	v_fma_f64 v[56:57], v[34:35], s[0:1], v[56:57]
	v_fma_f64 v[144:145], v[34:35], s[6:7], -v[6:7]
	v_fma_f64 v[6:7], v[34:35], s[6:7], v[6:7]
	v_add_f64 v[34:35], v[152:153], v[64:65]
	v_mul_f64 v[64:65], v[36:37], s[46:47]
	v_add_f64 v[22:23], v[122:123], v[22:23]
	v_add_f64 v[30:31], v[142:143], v[30:31]
	;; [unrolled: 1-line block ×4, first 2 shown]
	v_mul_f64 v[58:59], v[36:37], s[44:45]
	v_add_f64 v[24:25], v[60:61], v[24:25]
	v_mul_f64 v[60:61], v[36:37], s[26:27]
	v_add_f64 v[18:19], v[130:131], v[18:19]
	v_add_f64 v[26:27], v[132:133], v[26:27]
	;; [unrolled: 1-line block ×6, first 2 shown]
	v_mul_f64 v[54:55], v[36:37], s[14:15]
	v_mul_f64 v[62:63], v[36:37], s[38:39]
	v_add_f64 v[20:21], v[124:125], v[20:21]
	v_add_f64 v[14:15], v[56:57], v[14:15]
	;; [unrolled: 1-line block ×3, first 2 shown]
	v_mul_f64 v[56:57], v[36:37], s[50:51]
	v_mul_f64 v[66:67], v[36:37], s[20:21]
	;; [unrolled: 1-line block ×3, first 2 shown]
	v_fma_f64 v[132:133], v[38:39], s[0:1], -v[64:65]
	v_fma_f64 v[64:65], v[38:39], s[0:1], v[64:65]
	v_add_f64 v[2:3], v[6:7], v[2:3]
	v_add_f64 v[34:35], v[144:145], v[34:35]
	v_fma_f64 v[126:127], v[38:39], s[6:7], -v[58:59]
	v_fma_f64 v[58:59], v[38:39], s[6:7], v[58:59]
	v_fma_f64 v[128:129], v[38:39], s[4:5], -v[60:61]
	v_fma_f64 v[60:61], v[38:39], s[4:5], v[60:61]
	;; [unrolled: 2-line block ×7, first 2 shown]
	v_add_f64 v[38:39], v[132:133], v[50:51]
	v_add_f64 v[50:51], v[64:65], v[52:53]
	v_mul_f64 v[52:53], v[40:41], s[48:49]
	v_add_f64 v[18:19], v[126:127], v[18:19]
	v_add_f64 v[6:7], v[120:121], v[20:21]
	v_add_f64 v[14:15], v[54:55], v[14:15]
	v_add_f64 v[20:21], v[58:59], v[24:25]
	v_add_f64 v[24:25], v[128:129], v[26:27]
	v_add_f64 v[26:27], v[60:61], v[28:29]
	v_add_f64 v[28:29], v[130:131], v[32:33]
	v_add_f64 v[32:33], v[62:63], v[48:49]
	v_mul_f64 v[48:49], v[40:41], s[16:17]
	v_mul_f64 v[54:55], v[40:41], s[20:21]
	v_add_f64 v[12:13], v[56:57], v[12:13]
	v_mul_f64 v[56:57], v[40:41], s[18:19]
	v_mul_f64 v[58:59], v[40:41], s[46:47]
	;; [unrolled: 1-line block ×5, first 2 shown]
	v_fma_f64 v[120:121], v[42:43], s[30:31], -v[52:53]
	v_fma_f64 v[52:53], v[42:43], s[30:31], v[52:53]
	v_add_f64 v[16:17], v[124:125], v[16:17]
	v_add_f64 v[22:23], v[66:67], v[22:23]
	;; [unrolled: 1-line block ×3, first 2 shown]
	v_mul_f64 v[36:37], v[44:45], s[18:19]
	v_add_f64 v[30:31], v[134:135], v[30:31]
	v_add_f64 v[34:35], v[140:141], v[34:35]
	v_fma_f64 v[64:65], v[42:43], s[34:35], -v[48:49]
	v_fma_f64 v[48:49], v[42:43], s[34:35], v[48:49]
	v_fma_f64 v[122:123], v[42:43], s[8:9], -v[54:55]
	v_fma_f64 v[54:55], v[42:43], s[8:9], v[54:55]
	;; [unrolled: 2-line block ×7, first 2 shown]
	v_add_f64 v[12:13], v[52:53], v[12:13]
	v_mul_f64 v[42:43], v[44:45], s[40:41]
	v_mul_f64 v[52:53], v[44:45], s[52:53]
	v_add_f64 v[16:17], v[120:121], v[16:17]
	v_add_f64 v[6:7], v[64:65], v[6:7]
	;; [unrolled: 1-line block ×3, first 2 shown]
	v_mul_f64 v[48:49], v[44:45], s[22:23]
	v_add_f64 v[20:21], v[54:55], v[20:21]
	v_mul_f64 v[54:55], v[44:45], s[20:21]
	v_add_f64 v[26:27], v[56:57], v[26:27]
	;; [unrolled: 2-line block ×5, first 2 shown]
	v_add_f64 v[18:19], v[122:123], v[18:19]
	v_add_f64 v[2:3], v[40:41], v[2:3]
	v_fma_f64 v[40:41], v[46:47], s[36:37], -v[36:37]
	v_fma_f64 v[36:37], v[46:47], s[36:37], v[36:37]
	v_fma_f64 v[60:61], v[46:47], s[4:5], -v[42:43]
	v_fma_f64 v[42:43], v[46:47], s[4:5], v[42:43]
	;; [unrolled: 2-line block ×3, first 2 shown]
	v_add_f64 v[24:25], v[124:125], v[24:25]
	v_add_f64 v[38:39], v[128:129], v[38:39]
	;; [unrolled: 1-line block ×4, first 2 shown]
	v_fma_f64 v[62:63], v[46:47], s[0:1], -v[48:49]
	v_fma_f64 v[48:49], v[46:47], s[0:1], v[48:49]
	v_fma_f64 v[66:67], v[46:47], s[8:9], -v[54:55]
	v_fma_f64 v[54:55], v[46:47], s[8:9], v[54:55]
	;; [unrolled: 2-line block ×5, first 2 shown]
	v_mul_f64 v[46:47], v[8:9], s[16:17]
	v_add_f64 v[34:35], v[132:133], v[34:35]
	v_add_f64 v[6:7], v[40:41], v[6:7]
	;; [unrolled: 1-line block ×3, first 2 shown]
	v_mul_f64 v[36:37], v[8:9], s[42:43]
	v_add_f64 v[12:13], v[42:43], v[12:13]
	v_mul_f64 v[40:41], v[8:9], s[18:19]
	v_add_f64 v[26:27], v[52:53], v[26:27]
	v_mul_f64 v[42:43], v[8:9], s[44:45]
	v_mul_f64 v[52:53], v[8:9], s[14:15]
	v_add_f64 v[16:17], v[60:61], v[16:17]
	v_add_f64 v[24:25], v[64:65], v[24:25]
	;; [unrolled: 1-line block ×4, first 2 shown]
	v_mul_f64 v[48:49], v[8:9], s[40:41]
	v_add_f64 v[32:33], v[54:55], v[32:33]
	v_mul_f64 v[54:55], v[8:9], s[46:47]
	v_mul_f64 v[8:9], v[8:9], s[38:39]
	v_add_f64 v[38:39], v[120:121], v[38:39]
	v_add_f64 v[50:51], v[56:57], v[50:51]
	v_add_f64 v[28:29], v[66:67], v[28:29]
	v_add_f64 v[2:3], v[44:45], v[2:3]
	v_add_f64 v[22:23], v[58:59], v[22:23]
	v_fma_f64 v[60:61], v[10:11], s[34:35], -v[46:47]
	v_add_f64 v[30:31], v[122:123], v[30:31]
	v_add_f64 v[34:35], v[124:125], v[34:35]
	v_fma_f64 v[44:45], v[10:11], s[8:9], -v[36:37]
	v_fma_f64 v[36:37], v[10:11], s[8:9], v[36:37]
	v_fma_f64 v[56:57], v[10:11], s[36:37], -v[40:41]
	v_fma_f64 v[46:47], v[10:11], s[34:35], v[46:47]
	;; [unrolled: 2-line block ×4, first 2 shown]
	v_fma_f64 v[40:41], v[10:11], s[36:37], v[40:41]
	v_fma_f64 v[62:63], v[10:11], s[4:5], -v[48:49]
	v_fma_f64 v[48:49], v[10:11], s[4:5], v[48:49]
	v_fma_f64 v[66:67], v[10:11], s[0:1], -v[54:55]
	v_fma_f64 v[120:121], v[10:11], s[28:29], -v[8:9]
	v_fma_f64 v[54:55], v[10:11], s[0:1], v[54:55]
	v_fma_f64 v[8:9], v[10:11], s[28:29], v[8:9]
	v_add_f64 v[10:11], v[44:45], v[16:17]
	v_add_f64 v[12:13], v[36:37], v[12:13]
	;; [unrolled: 1-line block ×16, first 2 shown]
	v_mad_u32_u24 v14, 0x88, v158, 0
	ds_write2_b64 v14, v[4:5], v[6:7] offset1:1
	ds_write2_b64 v14, v[10:11], v[16:17] offset0:2 offset1:3
	ds_write2_b64 v14, v[18:19], v[26:27] offset0:4 offset1:5
	;; [unrolled: 1-line block ×7, first 2 shown]
	ds_write_b64 v14, v[8:9] offset:128
.LBB0_19:
	s_or_b32 exec_lo, exec_lo, s33
	v_add_nc_u32_e32 v122, 0x66, v198
	v_and_b32_e32 v2, 0xff, v198
	v_and_b32_e32 v3, 0xff, v158
	v_add_nc_u32_e32 v125, 0xff, v198
	v_mov_b32_e32 v22, 0xf0f1
	v_and_b32_e32 v64, 0xff, v122
	v_mul_lo_u16 v2, 0xf1, v2
	v_mul_lo_u16 v3, 0xf1, v3
	v_add_nc_u32_e32 v126, 0x132, v198
	v_mul_u32_u24_sdwa v23, v125, v22 dst_sel:DWORD dst_unused:UNUSED_PAD src0_sel:WORD_0 src1_sel:DWORD
	v_mul_lo_u16 v24, 0xf1, v64
	v_lshrrev_b16 v2, 12, v2
	v_lshrrev_b16 v4, 12, v3
	v_add_nc_u32_e32 v127, 0x165, v198
	v_lshrrev_b32_e32 v135, 20, v23
	v_lshrrev_b16 v67, 12, v24
	v_mul_u32_u24_sdwa v24, v126, v22 dst_sel:DWORD dst_unused:UNUSED_PAD src0_sel:WORD_0 src1_sel:DWORD
	v_mul_lo_u16 v3, v2, 17
	v_mul_lo_u16 v5, v4, 17
	v_add_nc_u32_e32 v123, 0x99, v198
	v_add_nc_u32_e32 v128, 0x198, v198
	v_mul_u32_u24_sdwa v25, v127, v22 dst_sel:DWORD dst_unused:UNUSED_PAD src0_sel:WORD_0 src1_sel:DWORD
	v_lshrrev_b32_e32 v156, 20, v24
	v_mul_lo_u16 v24, v135, 17
	v_mov_b32_e32 v62, 5
	v_sub_nc_u16 v3, v198, v3
	v_add_nc_u32_e32 v124, 0xcc, v198
	v_sub_nc_u16 v5, v158, v5
	v_and_b32_e32 v23, 0xff, v123
	v_mul_u32_u24_sdwa v22, v128, v22 dst_sel:DWORD dst_unused:UNUSED_PAD src0_sel:WORD_0 src1_sel:DWORD
	v_lshrrev_b32_e32 v157, 20, v25
	v_sub_nc_u16 v215, v125, v24
	v_lshlrev_b32_sdwa v10, v62, v3 dst_sel:DWORD dst_unused:UNUSED_PAD src0_sel:DWORD src1_sel:BYTE_0
	v_and_b32_e32 v38, 0xff, v124
	v_lshlrev_b32_sdwa v18, v62, v5 dst_sel:DWORD dst_unused:UNUSED_PAD src0_sel:DWORD src1_sel:BYTE_0
	v_mul_lo_u16 v23, 0xf1, v23
	v_mul_lo_u16 v25, v156, 17
	v_lshrrev_b32_e32 v217, 20, v22
	v_mul_lo_u16 v22, v157, 17
	v_lshlrev_b32_sdwa v26, v62, v215 dst_sel:DWORD dst_unused:UNUSED_PAD src0_sel:DWORD src1_sel:WORD_0
	s_waitcnt lgkmcnt(0)
	s_barrier
	buffer_gl0_inv
	s_clause 0x3
	global_load_dwordx4 v[6:9], v10, s[12:13] offset:16
	global_load_dwordx4 v[10:13], v10, s[12:13]
	global_load_dwordx4 v[14:17], v18, s[12:13] offset:16
	global_load_dwordx4 v[18:21], v18, s[12:13]
	v_mul_lo_u16 v46, 0xf1, v38
	v_lshrrev_b16 v216, 12, v23
	v_sub_nc_u16 v218, v126, v25
	v_sub_nc_u16 v219, v127, v22
	s_clause 0x1
	global_load_dwordx4 v[22:25], v26, s[12:13] offset:16
	global_load_dwordx4 v[26:29], v26, s[12:13]
	v_mul_lo_u16 v42, v67, 17
	v_mul_lo_u16 v30, v217, 17
	v_lshrrev_b16 v222, 12, v46
	v_mul_lo_u16 v51, v216, 17
	v_lshlrev_b32_sdwa v34, v62, v218 dst_sel:DWORD dst_unused:UNUSED_PAD src0_sel:DWORD src1_sel:WORD_0
	v_sub_nc_u16 v221, v122, v42
	v_sub_nc_u16 v220, v128, v30
	v_mul_lo_u16 v63, v222, 17
	v_sub_nc_u16 v223, v123, v51
	v_lshlrev_b32_sdwa v43, v62, v219 dst_sel:DWORD dst_unused:UNUSED_PAD src0_sel:DWORD src1_sel:WORD_0
	v_lshlrev_b32_sdwa v58, v62, v221 dst_sel:DWORD dst_unused:UNUSED_PAD src0_sel:DWORD src1_sel:BYTE_0
	v_lshlrev_b32_sdwa v50, v62, v220 dst_sel:DWORD dst_unused:UNUSED_PAD src0_sel:DWORD src1_sel:WORD_0
	v_sub_nc_u16 v224, v124, v63
	v_lshlrev_b32_sdwa v65, v62, v223 dst_sel:DWORD dst_unused:UNUSED_PAD src0_sel:DWORD src1_sel:BYTE_0
	s_clause 0x7
	global_load_dwordx4 v[30:33], v34, s[12:13] offset:16
	global_load_dwordx4 v[34:37], v34, s[12:13]
	global_load_dwordx4 v[38:41], v43, s[12:13]
	;; [unrolled: 1-line block ×3, first 2 shown]
	global_load_dwordx4 v[42:45], v43, s[12:13] offset:16
	global_load_dwordx4 v[50:53], v50, s[12:13] offset:16
	global_load_dwordx4 v[54:57], v58, s[12:13]
	global_load_dwordx4 v[58:61], v58, s[12:13] offset:16
	v_lshlrev_b32_sdwa v62, v62, v224 dst_sel:DWORD dst_unused:UNUSED_PAD src0_sel:DWORD src1_sel:BYTE_0
	s_clause 0x3
	global_load_dwordx4 v[129:132], v65, s[12:13]
	global_load_dwordx4 v[140:143], v65, s[12:13] offset:16
	global_load_dwordx4 v[144:147], v62, s[12:13]
	global_load_dwordx4 v[148:151], v62, s[12:13] offset:16
	v_lshlrev_b32_e32 v120, 3, v198
	v_mov_b32_e32 v121, 0
	v_mov_b32_e32 v225, 3
	ds_read2_b64 v[152:155], v159 offset1:51
	ds_read2_b64 v[166:169], v160 offset0:152 offset1:203
	ds_read2_b64 v[170:173], v161 offset0:150 offset1:201
	;; [unrolled: 1-line block ×12, first 2 shown]
	ds_read_b64 v[62:63], v159 offset:10608
	s_mov_b32 s4, 0xe8584caa
	v_lshlrev_b64 v[65:66], 4, v[120:121]
	v_mov_b32_e32 v120, 0x198
	v_lshlrev_b32_sdwa v3, v225, v3 dst_sel:DWORD dst_unused:UNUSED_PAD src0_sel:DWORD src1_sel:BYTE_0
	v_lshlrev_b32_sdwa v5, v225, v5 dst_sel:DWORD dst_unused:UNUSED_PAD src0_sel:DWORD src1_sel:BYTE_0
	v_lshlrev_b32_sdwa v215, v225, v215 dst_sel:DWORD dst_unused:UNUSED_PAD src0_sel:DWORD src1_sel:WORD_0
	s_mov_b32 s5, 0xbfebb67a
	v_mul_u32_u24_sdwa v2, v2, v120 dst_sel:DWORD dst_unused:UNUSED_PAD src0_sel:WORD_0 src1_sel:DWORD
	v_add_co_u32 v133, s0, s12, v65
	v_add_co_ci_u32_e64 v134, s0, s13, v66, s0
	v_mul_u32_u24_sdwa v4, v4, v120 dst_sel:DWORD dst_unused:UNUSED_PAD src0_sel:WORD_0 src1_sel:DWORD
	v_mul_u32_u24_e32 v65, 0x198, v135
	v_mul_u32_u24_e32 v66, 0x198, v156
	;; [unrolled: 1-line block ×3, first 2 shown]
	v_mul_u32_u24_sdwa v67, v67, v120 dst_sel:DWORD dst_unused:UNUSED_PAD src0_sel:WORD_0 src1_sel:DWORD
	v_mul_u32_u24_sdwa v157, v216, v120 dst_sel:DWORD dst_unused:UNUSED_PAD src0_sel:WORD_0 src1_sel:DWORD
	v_lshlrev_b32_sdwa v216, v225, v218 dst_sel:DWORD dst_unused:UNUSED_PAD src0_sel:DWORD src1_sel:WORD_0
	v_add3_u32 v229, 0, v2, v3
	v_lshlrev_b32_sdwa v2, v225, v221 dst_sel:DWORD dst_unused:UNUSED_PAD src0_sel:DWORD src1_sel:BYTE_0
	v_lshlrev_b32_sdwa v3, v225, v223 dst_sel:DWORD dst_unused:UNUSED_PAD src0_sel:DWORD src1_sel:BYTE_0
	v_mul_u32_u24_e32 v156, 0x198, v217
	v_lshlrev_b32_sdwa v218, v225, v220 dst_sel:DWORD dst_unused:UNUSED_PAD src0_sel:DWORD src1_sel:WORD_0
	v_lshlrev_b32_sdwa v217, v225, v219 dst_sel:DWORD dst_unused:UNUSED_PAD src0_sel:DWORD src1_sel:WORD_0
	v_add3_u32 v230, 0, v4, v5
	v_add3_u32 v231, 0, v65, v215
	;; [unrolled: 1-line block ×7, first 2 shown]
	v_mul_u32_u24_sdwa v120, v222, v120 dst_sel:DWORD dst_unused:UNUSED_PAD src0_sel:WORD_0 src1_sel:DWORD
	v_lshlrev_b32_sdwa v219, v225, v224 dst_sel:DWORD dst_unused:UNUSED_PAD src0_sel:DWORD src1_sel:BYTE_0
	s_mov_b32 s7, 0x3febb67a
	s_mov_b32 s6, s4
	v_mul_lo_u16 v64, 0xa1, v64
	s_waitcnt vmcnt(0) lgkmcnt(0)
	v_add3_u32 v120, 0, v120, v219
	s_barrier
	buffer_gl0_inv
	s_mov_b32 s24, 0x523c161c
	s_mov_b32 s16, 0x8c811c17
	s_mov_b32 s25, 0x3fe491b7
	s_mov_b32 s17, 0x3fef838b
	s_mov_b32 s21, 0xbfe491b7
	s_mov_b32 s20, s24
	s_mov_b32 s22, 0xa2cf5039
	s_mov_b32 s23, 0x3fe8836f
	s_mov_b32 s0, 0xe8584cab
	s_mov_b32 s1, s7
	s_mov_b32 s26, s0
	s_mov_b32 s27, s5
	s_mov_b32 s18, 0x7e0b738b
	s_mov_b32 s19, 0x3fc63a1a
	s_mov_b32 s8, 0x748a0bf8
	s_mov_b32 s14, 0x42522d1b
	s_mov_b32 s9, 0x3fd5e3a8
	s_mov_b32 s15, 0xbfee11f6
	v_mul_f64 v[2:3], v[170:171], v[8:9]
	v_mul_f64 v[4:5], v[104:105], v[8:9]
	;; [unrolled: 1-line block ×21, first 2 shown]
	v_fma_f64 v[2:3], v[104:105], v[6:7], v[2:3]
	v_fma_f64 v[4:5], v[170:171], v[6:7], -v[4:5]
	v_mul_f64 v[6:7], v[110:111], v[48:49]
	v_mul_f64 v[48:49], v[62:63], v[52:53]
	v_fma_f64 v[65:66], v[106:107], v[14:15], v[65:66]
	v_mul_f64 v[52:53], v[0:1], v[52:53]
	v_mul_f64 v[104:105], v[176:177], v[56:57]
	v_fma_f64 v[14:15], v[172:173], v[14:15], -v[16:17]
	v_mul_f64 v[16:17], v[90:91], v[56:57]
	v_mul_f64 v[56:57], v[182:183], v[60:61]
	;; [unrolled: 1-line block ×4, first 2 shown]
	v_fma_f64 v[8:9], v[70:71], v[10:11], v[8:9]
	v_fma_f64 v[10:11], v[168:169], v[10:11], -v[12:13]
	v_mul_f64 v[12:13], v[96:97], v[131:132]
	v_mul_f64 v[70:71], v[184:185], v[142:143]
	v_fma_f64 v[88:89], v[88:89], v[18:19], v[156:157]
	v_fma_f64 v[18:19], v[174:175], v[18:19], -v[20:21]
	v_mul_f64 v[20:21], v[94:95], v[142:143]
	v_mul_f64 v[131:132], v[188:189], v[146:147]
	;; [unrolled: 4-line block ×3, first 2 shown]
	v_fma_f64 v[102:103], v[102:103], v[22:23], v[217:218]
	v_fma_f64 v[22:23], v[196:197], v[22:23], -v[24:25]
	v_mul_f64 v[24:25], v[100:101], v[150:151]
	v_fma_f64 v[118:119], v[118:119], v[34:35], v[219:220]
	v_fma_f64 v[34:35], v[201:202], v[34:35], -v[36:37]
	v_fma_f64 v[36:37], v[112:113], v[30:31], v[221:222]
	v_fma_f64 v[30:31], v[207:208], v[30:31], -v[32:33]
	;; [unrolled: 2-line block ×12, first 2 shown]
	v_add_f64 v[62:63], v[72:73], v[8:9]
	v_add_f64 v[70:71], v[8:9], v[2:3]
	v_add_f64 v[90:91], v[10:11], -v[4:5]
	v_add_f64 v[92:93], v[152:153], v[10:11]
	v_add_f64 v[10:11], v[10:11], v[4:5]
	v_add_f64 v[94:95], v[74:75], v[88:89]
	v_add_f64 v[96:97], v[88:89], v[65:66]
	v_add_f64 v[98:99], v[18:19], -v[14:15]
	v_add_f64 v[100:101], v[154:155], v[18:19]
	v_add_f64 v[18:19], v[18:19], v[14:15]
	;; [unrolled: 5-line block ×3, first 2 shown]
	v_add_f64 v[112:113], v[116:117], -v[102:103]
	v_add_f64 v[114:115], v[84:85], v[118:119]
	v_add_f64 v[116:117], v[118:119], v[36:37]
	v_add_f64 v[129:130], v[34:35], -v[30:31]
	v_add_f64 v[131:132], v[203:204], v[34:35]
	v_add_f64 v[34:35], v[34:35], v[30:31]
	;; [unrolled: 1-line block ×9, first 2 shown]
	v_add_f64 v[174:175], v[16:17], -v[52:53]
	v_add_f64 v[176:177], v[178:179], v[16:17]
	v_add_f64 v[16:17], v[16:17], v[52:53]
	;; [unrolled: 1-line block ×3, first 2 shown]
	v_add_f64 v[186:187], v[12:13], -v[20:21]
	v_add_f64 v[188:189], v[180:181], v[12:13]
	v_add_f64 v[12:13], v[12:13], v[20:21]
	;; [unrolled: 1-line block ×4, first 2 shown]
	v_add_f64 v[199:200], v[28:29], -v[24:25]
	v_add_f64 v[201:202], v[190:191], v[28:29]
	v_add_f64 v[28:29], v[28:29], v[24:25]
	v_add_f64 v[144:145], v[38:39], -v[42:43]
	v_add_f64 v[38:39], v[38:39], v[42:43]
	v_add_f64 v[156:157], v[6:7], -v[46:47]
	;; [unrolled: 2-line block ×3, first 2 shown]
	v_add_f64 v[2:3], v[62:63], v[2:3]
	v_fma_f64 v[62:63], v[70:71], -0.5, v[72:73]
	v_add_f64 v[70:71], v[92:93], v[4:5]
	v_fma_f64 v[4:5], v[10:11], -0.5, v[152:153]
	v_add_f64 v[88:89], v[88:89], -v[65:66]
	v_add_f64 v[10:11], v[94:95], v[65:66]
	v_fma_f64 v[65:66], v[96:97], -0.5, v[74:75]
	v_add_f64 v[72:73], v[100:101], v[14:15]
	v_fma_f64 v[14:15], v[18:19], -0.5, v[154:155]
	v_add_f64 v[118:119], v[118:119], -v[36:37]
	v_add_f64 v[32:33], v[32:33], -v[40:41]
	v_add_f64 v[148:149], v[68:69], v[44:45]
	v_add_f64 v[48:49], v[48:49], -v[50:51]
	v_fma_f64 v[74:75], v[106:107], -0.5, v[82:83]
	v_add_f64 v[82:83], v[110:111], v[22:23]
	v_fma_f64 v[22:23], v[26:27], -0.5, v[192:193]
	v_add_f64 v[26:27], v[114:115], v[36:37]
	;; [unrolled: 2-line block ×6, first 2 shown]
	v_add_f64 v[46:47], v[170:171], v[50:51]
	v_fma_f64 v[50:51], v[172:173], -0.5, v[76:77]
	v_fma_f64 v[16:17], v[16:17], -0.5, v[178:179]
	v_add_f64 v[182:183], v[78:79], v[54:55]
	v_add_f64 v[54:55], v[54:55], -v[56:57]
	v_fma_f64 v[76:77], v[184:185], -0.5, v[78:79]
	v_fma_f64 v[12:13], v[12:13], -0.5, v[180:181]
	v_add_f64 v[58:59], v[58:59], -v[60:61]
	v_add_f64 v[78:79], v[188:189], v[20:21]
	v_add_f64 v[20:21], v[194:195], v[60:61]
	v_fma_f64 v[60:61], v[196:197], -0.5, v[80:81]
	v_add_f64 v[80:81], v[201:202], v[24:25]
	v_fma_f64 v[24:25], v[28:29], -0.5, v[190:191]
	v_fma_f64 v[38:39], v[38:39], -0.5, v[205:206]
	v_add_f64 v[44:45], v[44:45], -v[0:1]
	v_fma_f64 v[6:7], v[6:7], -0.5, v[166:167]
	v_fma_f64 v[28:29], v[90:91], s[4:5], v[62:63]
	v_fma_f64 v[62:63], v[90:91], s[6:7], v[62:63]
	;; [unrolled: 1-line block ×8, first 2 shown]
	v_add_f64 v[18:19], v[104:105], v[102:103]
	v_add_f64 v[52:53], v[176:177], v[52:53]
	v_fma_f64 v[98:99], v[118:119], s[6:7], v[30:31]
	v_fma_f64 v[100:101], v[118:119], s[4:5], v[30:31]
	;; [unrolled: 1-line block ×10, first 2 shown]
	v_add_f64 v[56:57], v[182:183], v[56:57]
	v_fma_f64 v[104:105], v[186:187], s[4:5], v[76:77]
	v_fma_f64 v[131:132], v[54:55], s[6:7], v[12:13]
	;; [unrolled: 1-line block ×14, first 2 shown]
	v_add_f64 v[0:1], v[148:149], v[0:1]
	v_fma_f64 v[32:33], v[156:157], s[4:5], v[42:43]
	v_fma_f64 v[112:113], v[44:45], s[6:7], v[6:7]
	;; [unrolled: 1-line block ×4, first 2 shown]
	ds_write2_b64 v229, v[2:3], v[28:29] offset1:17
	ds_write_b64 v229, v[62:63] offset:272
	ds_write2_b64 v230, v[10:11], v[4:5] offset1:17
	ds_write_b64 v230, v[8:9] offset:272
	;; [unrolled: 2-line block ×9, first 2 shown]
	s_waitcnt lgkmcnt(0)
	s_barrier
	buffer_gl0_inv
	ds_read2_b64 v[4:7], v159 offset1:51
	ds_read2_b64 v[0:3], v159 offset0:102 offset1:153
	ds_read2_b64 v[48:51], v160 offset0:50 offset1:101
	ds_read2_b64 v[20:23], v160 offset0:152 offset1:203
	ds_read2_b64 v[44:47], v163 offset0:100 offset1:151
	ds_read2_b64 v[12:15], v163 offset0:202 offset1:253
	ds_read2_b64 v[40:43], v161 offset0:150 offset1:201
	ds_read2_b64 v[8:11], v164 offset0:124 offset1:175
	ds_read2_b64 v[36:39], v165 offset0:200 offset1:251
	ds_read2_b64 v[32:35], v159 offset0:204 offset1:255
	ds_read2_b64 v[28:31], v162 offset0:126 offset1:177
	ds_read2_b64 v[24:27], v161 offset0:48 offset1:99
	ds_read2_b64 v[16:19], v165 offset0:98 offset1:149
	ds_read_b64 v[116:117], v159 offset:10608
	s_waitcnt lgkmcnt(0)
	s_barrier
	buffer_gl0_inv
	ds_write2_b64 v229, v[70:71], v[90:91] offset1:17
	ds_write_b64 v229, v[92:93] offset:272
	ds_write2_b64 v230, v[72:73], v[65:66] offset1:17
	ds_write_b64 v230, v[88:89] offset:272
	;; [unrolled: 2-line block ×9, first 2 shown]
	v_lshrrev_b16 v68, 13, v64
	s_waitcnt lgkmcnt(0)
	s_barrier
	buffer_gl0_inv
	s_clause 0x6
	global_load_dwordx4 v[56:59], v[133:134], off offset:544
	global_load_dwordx4 v[60:63], v[133:134], off offset:560
	;; [unrolled: 1-line block ×7, first 2 shown]
	v_mul_lo_u16 v80, v68, 51
	global_load_dwordx4 v[68:71], v[133:134], off offset:656
	v_sub_nc_u16 v80, v122, v80
	v_and_b32_e32 v118, 0xff, v80
	v_lshlrev_b32_e32 v100, 7, v118
	s_clause 0x7
	global_load_dwordx4 v[92:95], v100, s[12:13] offset:544
	global_load_dwordx4 v[88:91], v100, s[12:13] offset:560
	;; [unrolled: 1-line block ×8, first 2 shown]
	ds_read2_b64 v[129:132], v159 offset0:102 offset1:153
	ds_read2_b64 v[140:143], v160 offset0:50 offset1:101
	;; [unrolled: 1-line block ×3, first 2 shown]
	v_lshl_add_u32 v120, v118, 3, 0
	ds_read2_b64 v[148:151], v163 offset0:100 offset1:151
	ds_read2_b64 v[152:155], v159 offset1:51
	ds_read2_b64 v[166:169], v163 offset0:202 offset1:253
	ds_read2_b64 v[170:173], v161 offset0:150 offset1:201
	;; [unrolled: 1-line block ×8, first 2 shown]
	ds_read_b64 v[118:119], v159 offset:10608
	s_waitcnt vmcnt(0) lgkmcnt(0)
	s_barrier
	buffer_gl0_inv
	v_add_nc_u32_e32 v135, 0x1800, v120
	v_add_nc_u32_e32 v249, 0x1c00, v120
	;; [unrolled: 1-line block ×3, first 2 shown]
	v_mul_f64 v[133:134], v[131:132], v[58:59]
	v_mul_f64 v[156:157], v[2:3], v[58:59]
	;; [unrolled: 1-line block ×29, first 2 shown]
	v_fma_f64 v[48:49], v[48:49], v[60:61], v[199:200]
	v_fma_f64 v[50:51], v[50:51], v[60:61], v[211:212]
	v_mul_f64 v[66:67], v[16:17], v[66:67]
	v_mul_f64 v[199:200], v[180:181], v[70:71]
	v_fma_f64 v[140:141], v[140:141], v[60:61], -v[201:202]
	v_fma_f64 v[60:61], v[142:143], v[60:61], -v[62:63]
	v_mul_f64 v[62:63], v[38:39], v[70:71]
	v_mul_f64 v[70:71], v[184:185], v[94:95]
	;; [unrolled: 1-line block ×3, first 2 shown]
	v_fma_f64 v[44:45], v[44:45], v[96:97], v[207:208]
	v_fma_f64 v[46:47], v[46:47], v[96:97], v[229:230]
	v_mul_f64 v[90:91], v[20:21], v[90:91]
	v_mul_f64 v[201:202], v[188:189], v[86:87]
	v_fma_f64 v[148:149], v[148:149], v[96:97], -v[209:210]
	v_fma_f64 v[96:97], v[150:151], v[96:97], -v[98:99]
	v_mul_f64 v[86:87], v[30:31], v[86:87]
	v_mul_f64 v[98:99], v[166:167], v[82:83]
	;; [unrolled: 1-line block ×4, first 2 shown]
	v_fma_f64 v[2:3], v[2:3], v[56:57], v[133:134]
	v_fma_f64 v[131:132], v[131:132], v[56:57], -v[156:157]
	v_fma_f64 v[32:33], v[32:33], v[56:57], v[231:232]
	v_fma_f64 v[56:57], v[182:183], v[56:57], -v[58:59]
	v_mul_f64 v[58:59], v[26:27], v[114:115]
	v_mul_f64 v[114:115], v[174:175], v[110:111]
	v_fma_f64 v[22:23], v[22:23], v[52:53], v[203:204]
	v_fma_f64 v[133:134], v[146:147], v[52:53], -v[205:206]
	v_fma_f64 v[28:29], v[28:29], v[52:53], v[233:234]
	v_fma_f64 v[52:53], v[186:187], v[52:53], -v[54:55]
	v_mul_f64 v[54:55], v[8:9], v[110:111]
	v_mul_f64 v[110:111], v[196:197], v[106:107]
	;; [unrolled: 6-line block ×3, first 2 shown]
	v_fma_f64 v[156:157], v[170:171], v[72:73], -v[219:220]
	v_fma_f64 v[168:169], v[176:177], v[64:65], -v[223:224]
	v_fma_f64 v[36:37], v[36:37], v[68:69], v[225:226]
	v_fma_f64 v[170:171], v[178:179], v[68:69], -v[227:228]
	v_mul_f64 v[94:95], v[34:35], v[94:95]
	v_fma_f64 v[40:41], v[40:41], v[72:73], v[217:218]
	v_fma_f64 v[42:43], v[42:43], v[72:73], v[237:238]
	;; [unrolled: 1-line block ×3, first 2 shown]
	v_fma_f64 v[72:73], v[172:173], v[72:73], -v[74:75]
	v_fma_f64 v[16:17], v[16:17], v[64:65], v[239:240]
	v_fma_f64 v[64:65], v[194:195], v[64:65], -v[66:67]
	v_fma_f64 v[38:39], v[38:39], v[68:69], v[199:200]
	;; [unrolled: 2-line block ×5, first 2 shown]
	v_fma_f64 v[74:75], v[166:167], v[80:81], -v[82:83]
	v_add_f64 v[98:99], v[44:45], -v[14:15]
	v_mul_f64 v[102:103], v[116:117], v[102:103]
	v_fma_f64 v[80:81], v[116:117], v[100:101], v[106:107]
	v_fma_f64 v[20:21], v[20:21], v[88:89], v[142:143]
	v_add_f64 v[90:91], v[140:141], v[168:169]
	v_add_f64 v[84:85], v[2:3], v[36:37]
	;; [unrolled: 1-line block ×3, first 2 shown]
	v_add_f64 v[2:3], v[2:3], -v[36:37]
	v_fma_f64 v[66:67], v[184:185], v[92:93], -v[94:95]
	v_fma_f64 v[26:27], v[26:27], v[112:113], v[150:151]
	v_fma_f64 v[58:59], v[192:193], v[112:113], -v[58:59]
	v_fma_f64 v[8:9], v[8:9], v[108:109], v[114:115]
	;; [unrolled: 2-line block ×3, first 2 shown]
	v_fma_f64 v[78:79], v[196:197], v[104:105], -v[78:79]
	v_add_f64 v[88:89], v[48:49], v[10:11]
	v_add_f64 v[94:95], v[133:134], v[156:157]
	v_add_f64 v[10:11], v[48:49], -v[10:11]
	v_add_f64 v[104:105], v[148:149], v[146:147]
	v_add_f64 v[106:107], v[32:33], v[38:39]
	;; [unrolled: 1-line block ×5, first 2 shown]
	v_add_f64 v[16:17], v[50:51], -v[16:17]
	v_add_f64 v[50:51], v[60:61], -v[64:65]
	v_add_f64 v[64:65], v[34:35], v[80:81]
	v_add_f64 v[34:35], v[34:35], -v[80:81]
	v_mul_f64 v[150:151], v[98:99], s[20:21]
	v_add_f64 v[180:181], v[90:91], v[86:87]
	v_mul_f64 v[80:81], v[2:3], s[24:25]
	v_mul_f64 v[182:183], v[98:99], s[16:17]
	v_add_f64 v[114:115], v[28:29], v[42:43]
	v_add_f64 v[116:117], v[52:53], v[72:73]
	v_add_f64 v[32:33], v[32:33], -v[38:39]
	v_add_f64 v[28:29], v[28:29], -v[42:43]
	;; [unrolled: 1-line block ×4, first 2 shown]
	v_fma_f64 v[82:83], v[118:119], v[100:101], -v[102:103]
	v_add_f64 v[102:103], v[44:45], v[14:15]
	v_add_f64 v[92:93], v[22:23], v[40:41]
	v_add_f64 v[22:23], v[22:23], -v[40:41]
	v_add_f64 v[38:39], v[56:57], -v[62:63]
	v_add_f64 v[60:61], v[46:47], v[24:25]
	v_add_f64 v[62:63], v[96:97], v[76:77]
	;; [unrolled: 1-line block ×5, first 2 shown]
	v_add_f64 v[48:49], v[140:141], -v[168:169]
	v_fma_f64 v[144:145], v[86:87], s[22:23], v[152:153]
	v_fma_f64 v[150:151], v[2:3], s[16:17], v[150:151]
	v_add_f64 v[237:238], v[104:105], v[180:181]
	v_fma_f64 v[80:81], v[10:11], s[16:17], v[80:81]
	v_fma_f64 v[182:183], v[10:11], s[20:21], -v[182:183]
	v_fma_f64 v[168:169], v[104:105], s[22:23], v[152:153]
	v_fma_f64 v[188:189], v[90:91], s[22:23], v[152:153]
	v_mul_f64 v[190:191], v[32:33], s[24:25]
	v_add_f64 v[36:37], v[131:132], -v[170:171]
	v_add_f64 v[100:101], v[148:149], -v[146:147]
	v_mul_f64 v[199:200], v[52:53], s[20:21]
	v_mul_f64 v[221:222], v[52:53], s[16:17]
	v_add_f64 v[56:57], v[96:97], -v[76:77]
	v_fma_f64 v[142:143], v[84:85], s[22:23], v[4:5]
	v_fma_f64 v[166:167], v[102:103], s[22:23], v[4:5]
	;; [unrolled: 1-line block ×3, first 2 shown]
	v_add_f64 v[40:41], v[133:134], -v[156:157]
	v_add_f64 v[72:73], v[66:67], v[82:83]
	v_add_f64 v[118:119], v[20:21], v[18:19]
	;; [unrolled: 1-line block ×5, first 2 shown]
	v_add_f64 v[66:67], v[66:67], -v[82:83]
	v_add_f64 v[18:19], v[20:21], -v[18:19]
	;; [unrolled: 1-line block ×6, first 2 shown]
	v_add_f64 v[70:71], v[12:13], v[26:27]
	v_add_f64 v[211:212], v[6:7], v[114:115]
	;; [unrolled: 1-line block ×3, first 2 shown]
	v_fma_f64 v[178:179], v[237:238], -0.5, v[178:179]
	v_add_f64 v[237:238], v[60:61], v[215:216]
	v_fma_f64 v[80:81], v[22:23], s[0:1], v[80:81]
	v_fma_f64 v[150:151], v[22:23], s[26:27], v[150:151]
	;; [unrolled: 1-line block ×3, first 2 shown]
	v_add_f64 v[182:183], v[62:63], v[217:218]
	v_add_f64 v[54:55], v[12:13], -v[26:27]
	v_add_f64 v[78:79], v[74:75], v[58:59]
	v_fma_f64 v[144:145], v[90:91], s[18:19], v[144:145]
	v_fma_f64 v[168:169], v[86:87], s[18:19], v[168:169]
	;; [unrolled: 1-line block ×5, first 2 shown]
	v_fma_f64 v[221:222], v[16:17], s[20:21], -v[221:222]
	v_mul_f64 v[82:83], v[36:37], s[24:25]
	v_mul_f64 v[156:157], v[100:101], s[20:21]
	v_add_f64 v[174:175], v[88:89], v[84:85]
	v_mul_f64 v[184:185], v[100:101], s[16:17]
	v_mul_f64 v[192:193], v[38:39], s[24:25]
	;; [unrolled: 1-line block ×4, first 2 shown]
	v_add_f64 v[180:181], v[94:95], v[180:181]
	v_fma_f64 v[142:143], v[88:89], s[18:19], v[142:143]
	v_fma_f64 v[166:167], v[84:85], s[18:19], v[166:167]
	;; [unrolled: 1-line block ×6, first 2 shown]
	v_mul_f64 v[231:232], v[66:67], s[24:25]
	v_fma_f64 v[233:234], v[64:65], s[22:23], v[0:1]
	v_mul_f64 v[241:242], v[68:69], s[20:21]
	v_fma_f64 v[243:244], v[70:71], s[22:23], v[0:1]
	v_fma_f64 v[211:212], v[237:238], -0.5, v[211:212]
	v_mul_f64 v[237:238], v[68:69], s[16:17]
	v_fma_f64 v[182:183], v[182:183], -0.5, v[213:214]
	v_fma_f64 v[213:214], v[118:119], s[22:23], v[0:1]
	v_fma_f64 v[235:236], v[72:73], s[22:23], v[129:130]
	;; [unrolled: 1-line block ×5, first 2 shown]
	v_mul_f64 v[229:230], v[34:35], s[24:25]
	v_mul_f64 v[239:240], v[54:55], s[20:21]
	v_fma_f64 v[245:246], v[78:79], s[22:23], v[129:130]
	v_fma_f64 v[144:145], v[94:95], -0.5, v[144:145]
	v_fma_f64 v[168:169], v[94:95], -0.5, v[168:169]
	;; [unrolled: 1-line block ×3, first 2 shown]
	v_mul_f64 v[188:189], v[54:55], s[16:17]
	v_fma_f64 v[190:191], v[28:29], s[0:1], v[190:191]
	v_fma_f64 v[199:200], v[28:29], s[26:27], v[199:200]
	;; [unrolled: 1-line block ×4, first 2 shown]
	v_add_f64 v[219:220], v[102:103], v[174:175]
	v_fma_f64 v[82:83], v[48:49], s[16:17], v[82:83]
	v_fma_f64 v[156:157], v[36:37], s[16:17], v[156:157]
	v_fma_f64 v[184:185], v[48:49], s[20:21], -v[184:185]
	v_add_f64 v[174:175], v[92:93], v[174:175]
	v_add_f64 v[176:177], v[4:5], v[92:93]
	;; [unrolled: 1-line block ×4, first 2 shown]
	v_fma_f64 v[142:143], v[92:93], -0.5, v[142:143]
	v_fma_f64 v[166:167], v[92:93], -0.5, v[166:167]
	v_fma_f64 v[92:93], v[92:93], -0.5, v[186:187]
	v_add_f64 v[186:187], v[131:132], v[72:73]
	v_fma_f64 v[192:193], v[50:51], s[16:17], v[192:193]
	v_fma_f64 v[201:202], v[38:39], s[16:17], v[201:202]
	v_fma_f64 v[223:224], v[50:51], s[20:21], -v[223:224]
	v_add_f64 v[215:216], v[114:115], v[215:216]
	v_fma_f64 v[194:195], v[110:111], s[18:19], v[194:195]
	v_fma_f64 v[203:204], v[106:107], s[18:19], v[203:204]
	;; [unrolled: 1-line block ×7, first 2 shown]
	v_fma_f64 v[237:238], v[20:21], s[20:21], -v[237:238]
	v_fma_f64 v[213:214], v[70:71], s[18:19], v[213:214]
	v_add_f64 v[217:218], v[116:117], v[217:218]
	v_fma_f64 v[235:236], v[131:132], s[18:19], v[235:236]
	v_fma_f64 v[196:197], v[112:113], s[18:19], v[196:197]
	;; [unrolled: 1-line block ×7, first 2 shown]
	v_fma_f64 v[188:189], v[18:19], s[20:21], -v[188:189]
	v_fma_f64 v[221:222], v[78:79], s[18:19], v[221:222]
	v_fma_f64 v[82:83], v[40:41], s[0:1], v[82:83]
	;; [unrolled: 1-line block ×4, first 2 shown]
	v_add_f64 v[44:45], v[44:45], v[174:175]
	v_add_f64 v[172:173], v[100:101], v[36:37]
	v_fma_f64 v[192:193], v[42:43], s[0:1], v[192:193]
	v_fma_f64 v[201:202], v[42:43], s[26:27], v[201:202]
	;; [unrolled: 1-line block ×3, first 2 shown]
	v_add_f64 v[223:224], v[70:71], v[180:181]
	v_add_f64 v[46:47], v[46:47], v[215:216]
	;; [unrolled: 1-line block ×6, first 2 shown]
	v_fma_f64 v[194:195], v[114:115], -0.5, v[194:195]
	v_fma_f64 v[203:204], v[114:115], -0.5, v[203:204]
	;; [unrolled: 1-line block ×3, first 2 shown]
	v_add_f64 v[184:185], v[0:1], v[133:134]
	v_fma_f64 v[231:232], v[30:31], s[0:1], v[231:232]
	v_fma_f64 v[233:234], v[133:134], -0.5, v[233:234]
	v_fma_f64 v[241:242], v[30:31], s[26:27], v[241:242]
	v_fma_f64 v[243:244], v[133:134], -0.5, v[243:244]
	;; [unrolled: 2-line block ×3, first 2 shown]
	v_fma_f64 v[176:177], v[219:220], -0.5, v[176:177]
	v_add_f64 v[219:220], v[68:69], v[66:67]
	v_add_f64 v[96:97], v[96:97], v[217:218]
	v_fma_f64 v[235:236], v[140:141], -0.5, v[235:236]
	v_add_f64 v[170:171], v[98:99], v[2:3]
	v_add_f64 v[207:208], v[52:53], v[32:33]
	;; [unrolled: 1-line block ×4, first 2 shown]
	v_fma_f64 v[196:197], v[116:117], -0.5, v[196:197]
	v_fma_f64 v[205:206], v[116:117], -0.5, v[205:206]
	;; [unrolled: 1-line block ×3, first 2 shown]
	v_fma_f64 v[229:230], v[8:9], s[0:1], v[229:230]
	v_fma_f64 v[239:240], v[8:9], s[26:27], v[239:240]
	v_fma_f64 v[245:246], v[140:141], -0.5, v[245:246]
	v_fma_f64 v[8:9], v[8:9], s[0:1], v[188:189]
	v_fma_f64 v[140:141], v[140:141], -0.5, v[221:222]
	v_fma_f64 v[2:3], v[2:3], s[8:9], v[22:23]
	v_fma_f64 v[22:23], v[36:37], s[8:9], v[40:41]
	v_add_f64 v[14:15], v[14:15], v[44:45]
	v_fma_f64 v[40:41], v[84:85], s[14:15], v[92:93]
	v_add_f64 v[172:173], v[172:173], -v[48:49]
	v_add_f64 v[12:13], v[12:13], v[180:181]
	v_add_f64 v[74:75], v[74:75], v[186:187]
	v_fma_f64 v[48:49], v[48:49], s[8:9], v[156:157]
	v_fma_f64 v[88:89], v[88:89], s[14:15], v[166:167]
	v_fma_f64 v[80:81], v[98:99], s[8:9], v[80:81]
	v_fma_f64 v[82:83], v[100:101], s[8:9], v[82:83]
	v_fma_f64 v[98:99], v[102:103], s[14:15], v[142:143]
	v_add_f64 v[209:210], v[209:210], -v[50:51]
	v_fma_f64 v[28:29], v[32:33], s[8:9], v[28:29]
	v_fma_f64 v[32:33], v[38:39], s[8:9], v[42:43]
	;; [unrolled: 1-line block ×4, first 2 shown]
	v_add_f64 v[36:37], v[146:147], v[148:149]
	v_fma_f64 v[56:57], v[56:57], s[8:9], v[192:193]
	v_fma_f64 v[60:61], v[60:61], s[14:15], v[194:195]
	;; [unrolled: 1-line block ×7, first 2 shown]
	v_add_f64 v[219:220], v[219:220], -v[20:21]
	v_fma_f64 v[184:185], v[223:224], -0.5, v[184:185]
	v_add_f64 v[38:39], v[76:77], v[96:97]
	v_fma_f64 v[76:77], v[78:79], s[14:15], v[235:236]
	v_fma_f64 v[20:21], v[20:21], s[8:9], v[241:242]
	;; [unrolled: 1-line block ×5, first 2 shown]
	v_add_f64 v[170:171], v[170:171], -v[10:11]
	v_add_f64 v[207:208], v[207:208], -v[16:17]
	v_add_f64 v[247:248], v[247:248], -v[18:19]
	v_fma_f64 v[10:11], v[10:11], s[8:9], v[150:151]
	v_fma_f64 v[90:91], v[90:91], s[14:15], v[168:169]
	;; [unrolled: 1-line block ×6, first 2 shown]
	v_add_f64 v[24:25], v[24:25], v[46:47]
	v_fma_f64 v[46:47], v[108:109], s[14:15], v[116:117]
	v_fma_f64 v[18:19], v[18:19], s[8:9], v[239:240]
	;; [unrolled: 1-line block ×5, first 2 shown]
	v_add_f64 v[4:5], v[4:5], v[14:15]
	v_add_f64 v[14:15], v[40:41], -v[22:23]
	v_mul_f64 v[225:226], v[172:173], s[0:1]
	v_fma_f64 v[102:103], v[172:173], s[26:27], v[176:177]
	v_add_f64 v[12:13], v[26:27], v[12:13]
	v_add_f64 v[26:27], v[58:59], v[74:75]
	v_add_f64 v[74:75], v[88:89], -v[48:49]
	v_add_f64 v[58:59], v[98:99], -v[82:83]
	v_mul_f64 v[223:224], v[209:210], s[0:1]
	v_fma_f64 v[92:93], v[209:210], s[26:27], v[211:212]
	v_add_f64 v[40:41], v[42:43], -v[32:33]
	v_add_f64 v[72:73], v[80:81], v[100:101]
	v_add_f64 v[100:101], v[152:153], v[36:37]
	v_add_f64 v[36:37], v[60:61], -v[56:57]
	v_add_f64 v[42:43], v[84:85], -v[50:51]
	v_add_f64 v[110:111], v[2:3], v[44:45]
	v_add_f64 v[44:45], v[64:65], -v[30:31]
	v_mul_f64 v[188:189], v[219:220], s[0:1]
	v_fma_f64 v[66:67], v[219:220], s[26:27], v[184:185]
	v_add_f64 v[64:65], v[78:79], -v[20:21]
	v_add_f64 v[70:71], v[70:71], -v[68:69]
	v_fma_f64 v[174:175], v[215:216], -0.5, v[174:175]
	v_add_f64 v[88:89], v[10:11], v[90:91]
	v_add_f64 v[60:61], v[52:53], v[62:63]
	;; [unrolled: 1-line block ×6, first 2 shown]
	v_fma_f64 v[54:55], v[54:55], s[8:9], v[229:230]
	v_fma_f64 v[22:23], v[22:23], 2.0, v[14:15]
	v_fma_f64 v[90:91], v[225:226], 2.0, v[102:103]
	;; [unrolled: 1-line block ×3, first 2 shown]
	v_add_f64 v[6:7], v[6:7], v[24:25]
	v_add_f64 v[0:1], v[0:1], v[12:13]
	v_fma_f64 v[12:13], v[82:83], 2.0, v[58:59]
	v_fma_f64 v[78:79], v[223:224], 2.0, v[92:93]
	;; [unrolled: 1-line block ×3, first 2 shown]
	v_add_f64 v[86:87], v[154:155], v[38:39]
	v_fma_f64 v[38:39], v[56:57], 2.0, v[36:37]
	v_fma_f64 v[46:47], v[50:51], 2.0, v[42:43]
	v_add_f64 v[56:57], v[129:130], v[26:27]
	v_fma_f64 v[26:27], v[30:31], 2.0, v[44:45]
	v_fma_f64 v[24:25], v[188:189], 2.0, v[66:67]
	;; [unrolled: 1-line block ×3, first 2 shown]
	v_mul_f64 v[217:218], v[170:171], s[0:1]
	v_fma_f64 v[104:105], v[170:171], s[0:1], v[178:179]
	v_fma_f64 v[30:31], v[68:69], 2.0, v[70:71]
	v_mul_f64 v[227:228], v[207:208], s[0:1]
	v_fma_f64 v[94:95], v[207:208], s[0:1], v[182:183]
	v_mul_f64 v[215:216], v[247:248], s[0:1]
	v_fma_f64 v[106:107], v[247:248], s[0:1], v[174:175]
	v_fma_f64 v[68:69], v[10:11], -2.0, v[88:89]
	v_fma_f64 v[82:83], v[2:3], -2.0, v[110:111]
	v_fma_f64 v[118:119], v[16:17], -2.0, v[62:63]
	v_fma_f64 v[129:130], v[28:29], -2.0, v[112:113]
	v_fma_f64 v[131:132], v[18:19], -2.0, v[96:97]
	v_fma_f64 v[133:134], v[8:9], -2.0, v[114:115]
	ds_write2_b64 v159, v[4:5], v[58:59] offset1:51
	ds_write2_b64 v159, v[74:75], v[102:103] offset0:102 offset1:153
	ds_write2_b64 v162, v[36:37], v[42:43] offset0:126 offset1:177
	;; [unrolled: 1-line block ×12, first 2 shown]
	ds_write_b64 v120, v[30:31] offset:10608
	s_waitcnt lgkmcnt(0)
	s_barrier
	buffer_gl0_inv
	ds_read2_b64 v[0:3], v159 offset1:51
	ds_read2_b64 v[16:19], v160 offset0:152 offset1:203
	ds_read2_b64 v[20:23], v161 offset0:150 offset1:201
	;; [unrolled: 1-line block ×12, first 2 shown]
	ds_read_b64 v[108:109], v159 offset:10608
	v_add_f64 v[76:77], v[54:55], v[76:77]
	v_fma_f64 v[80:81], v[80:81], -2.0, v[72:73]
	v_fma_f64 v[52:53], v[52:53], -2.0, v[60:61]
	s_waitcnt lgkmcnt(0)
	s_barrier
	v_fma_f64 v[98:99], v[217:218], -2.0, v[104:105]
	buffer_gl0_inv
	v_fma_f64 v[84:85], v[227:228], -2.0, v[94:95]
	v_fma_f64 v[116:117], v[215:216], -2.0, v[106:107]
	;; [unrolled: 1-line block ×3, first 2 shown]
	ds_write2_b64 v159, v[100:101], v[72:73] offset1:51
	ds_write2_b64 v159, v[88:89], v[104:105] offset0:102 offset1:153
	ds_write2_b64 v159, v[110:111], v[82:83] offset0:204 offset1:255
	;; [unrolled: 1-line block ×12, first 2 shown]
	ds_write_b64 v120, v[54:55] offset:10608
	s_waitcnt lgkmcnt(0)
	s_barrier
	buffer_gl0_inv
	s_and_saveexec_b32 s0, vcc_lo
	s_cbranch_execz .LBB0_21
; %bb.20:
	v_lshlrev_b32_e32 v120, 1, v128
	v_add_nc_u32_e32 v150, 0x800, v159
	v_add_nc_u32_e32 v179, 0x1800, v159
	;; [unrolled: 1-line block ×4, first 2 shown]
	v_lshlrev_b64 v[52:53], 4, v[120:121]
	v_lshlrev_b32_e32 v120, 1, v127
	v_add_nc_u32_e32 v170, 0x1c00, v159
	v_add_nc_u32_e32 v174, 0xc00, v159
	v_mul_lo_u32 v178, s2, v139
	v_lshlrev_b64 v[184:185], 4, v[136:137]
	v_add_co_u32 v54, vcc_lo, s12, v52
	v_add_co_ci_u32_e32 v55, vcc_lo, s13, v53, vcc_lo
	v_lshlrev_b64 v[60:61], 4, v[120:121]
	v_add_co_u32 v52, vcc_lo, 0x1800, v54
	v_add_co_ci_u32_e32 v53, vcc_lo, 0, v55, vcc_lo
	v_add_co_u32 v54, vcc_lo, 0x1ba0, v54
	v_lshlrev_b32_e32 v120, 1, v126
	v_add_co_ci_u32_e32 v55, vcc_lo, 0, v55, vcc_lo
	v_add_co_u32 v64, vcc_lo, s12, v60
	v_add_co_ci_u32_e32 v65, vcc_lo, s13, v61, vcc_lo
	v_lshlrev_b64 v[60:61], 4, v[120:121]
	v_add_co_u32 v62, vcc_lo, 0x1ba0, v64
	v_add_co_ci_u32_e32 v63, vcc_lo, 0, v65, vcc_lo
	v_lshlrev_b32_e32 v120, 1, v125
	v_add_co_u32 v66, vcc_lo, s12, v60
	v_add_co_ci_u32_e32 v67, vcc_lo, s13, v61, vcc_lo
	v_add_co_u32 v60, vcc_lo, 0x1800, v64
	v_add_co_ci_u32_e32 v61, vcc_lo, 0, v65, vcc_lo
	v_add_co_u32 v64, vcc_lo, 0x1800, v66
	v_lshlrev_b64 v[76:77], 4, v[120:121]
	v_add_co_ci_u32_e32 v65, vcc_lo, 0, v67, vcc_lo
	v_add_co_u32 v66, vcc_lo, 0x1ba0, v66
	v_lshlrev_b32_e32 v120, 1, v124
	v_add_co_ci_u32_e32 v67, vcc_lo, 0, v67, vcc_lo
	v_add_co_u32 v80, vcc_lo, s12, v76
	v_add_co_ci_u32_e32 v81, vcc_lo, s13, v77, vcc_lo
	v_lshlrev_b64 v[76:77], 4, v[120:121]
	v_add_co_u32 v78, vcc_lo, 0x1ba0, v80
	v_add_co_ci_u32_e32 v79, vcc_lo, 0, v81, vcc_lo
	v_lshlrev_b32_e32 v120, 1, v123
	v_add_co_u32 v82, vcc_lo, s12, v76
	v_add_co_ci_u32_e32 v83, vcc_lo, s13, v77, vcc_lo
	v_add_co_u32 v76, vcc_lo, 0x1800, v80
	v_add_co_ci_u32_e32 v77, vcc_lo, 0, v81, vcc_lo
	v_add_co_u32 v80, vcc_lo, 0x1800, v82
	v_lshlrev_b64 v[92:93], 4, v[120:121]
	;; [unrolled: 16-line block ×3, first 2 shown]
	v_add_co_ci_u32_e32 v97, vcc_lo, 0, v99, vcc_lo
	v_add_co_u32 v98, vcc_lo, 0x1ba0, v98
	v_add_co_ci_u32_e32 v99, vcc_lo, 0, v99, vcc_lo
	v_add_co_u32 v112, vcc_lo, s12, v110
	v_lshlrev_b32_e32 v120, 1, v198
	v_add_co_ci_u32_e32 v113, vcc_lo, s13, v111, vcc_lo
	s_clause 0x9
	global_load_dwordx4 v[56:59], v[52:53], off offset:928
	global_load_dwordx4 v[52:55], v[54:55], off offset:16
	global_load_dwordx4 v[68:71], v[60:61], off offset:928
	global_load_dwordx4 v[72:75], v[62:63], off offset:16
	global_load_dwordx4 v[60:63], v[64:65], off offset:928
	global_load_dwordx4 v[64:67], v[66:67], off offset:16
	global_load_dwordx4 v[84:87], v[76:77], off offset:928
	global_load_dwordx4 v[88:91], v[78:79], off offset:16
	global_load_dwordx4 v[76:79], v[80:81], off offset:928
	global_load_dwordx4 v[80:83], v[82:83], off offset:16
	v_add_co_u32 v114, vcc_lo, 0x1ba0, v112
	v_lshlrev_b64 v[110:111], 4, v[120:121]
	v_add_co_ci_u32_e32 v115, vcc_lo, 0, v113, vcc_lo
	v_add_co_u32 v112, vcc_lo, 0x1800, v112
	v_add_co_ci_u32_e32 v113, vcc_lo, 0, v113, vcc_lo
	v_add_co_u32 v120, vcc_lo, s12, v110
	v_add_co_ci_u32_e32 v122, vcc_lo, s13, v111, vcc_lo
	s_clause 0x3
	global_load_dwordx4 v[100:103], v[92:93], off offset:928
	global_load_dwordx4 v[104:107], v[94:95], off offset:16
	;; [unrolled: 1-line block ×4, first 2 shown]
	v_add_co_u32 v118, vcc_lo, 0x1800, v120
	v_add_co_ci_u32_e32 v119, vcc_lo, 0, v122, vcc_lo
	v_add_co_u32 v126, vcc_lo, 0x1ba0, v120
	v_add_co_ci_u32_e32 v127, vcc_lo, 0, v122, vcc_lo
	s_clause 0x3
	global_load_dwordx4 v[110:113], v[112:113], off offset:928
	global_load_dwordx4 v[114:117], v[114:115], off offset:16
	;; [unrolled: 1-line block ×4, first 2 shown]
	ds_read_b64 v[182:183], v159 offset:10608
	v_mul_lo_u32 v120, s3, v138
	v_mad_u64_u32 v[118:119], null, s2, v138, 0
	ds_read2_b64 v[130:133], v159 offset0:204 offset1:255
	ds_read2_b64 v[138:141], v159 offset0:102 offset1:153
	ds_read2_b64 v[142:145], v159 offset1:51
	ds_read2_b64 v[134:137], v150 offset0:152 offset1:203
	ds_read2_b64 v[146:149], v179 offset0:48 offset1:99
	;; [unrolled: 1-line block ×9, first 2 shown]
	v_mul_hi_u32 v180, 0x4763d59d, v198
	v_add_nc_u32_e32 v190, 51, v198
	v_add_nc_u32_e32 v191, 0x66, v198
	v_add3_u32 v119, v119, v178, v120
	v_add_nc_u32_e32 v193, 0xcc, v198
	v_add_nc_u32_e32 v192, 0x99, v198
	v_mul_hi_u32 v194, 0x4763d59d, v190
	v_mul_hi_u32 v195, 0x4763d59d, v191
	v_lshrrev_b32_e32 v197, 7, v180
	ds_read2_b64 v[178:181], v179 offset0:150 offset1:201
	v_mul_hi_u32 v120, 0x4763d59d, v193
	v_lshlrev_b64 v[118:119], 4, v[118:119]
	v_add_nc_u32_e32 v231, 0xff, v198
	v_mul_u32_u24_e32 v197, 0x1cb, v197
	v_lshrrev_b32_e32 v194, 7, v194
	v_mul_hi_u32 v196, 0x4763d59d, v192
	v_lshrrev_b32_e32 v200, 7, v195
	v_add_co_u32 v118, vcc_lo, s10, v118
	v_lshrrev_b32_e32 v209, 7, v120
	v_sub_nc_u32_e32 v120, v198, v197
	v_mul_u32_u24_e32 v195, 0x1cb, v194
	v_mul_hi_u32 v199, 0x4763d59d, v231
	v_add_co_ci_u32_e32 v119, vcc_lo, s11, v119, vcc_lo
	v_lshrrev_b32_e32 v205, 7, v196
	v_lshlrev_b32_e32 v120, 4, v120
	v_sub_nc_u32_e32 v190, v190, v195
	v_add_co_u32 v233, vcc_lo, v118, v184
	v_add_co_ci_u32_e32 v234, vcc_lo, v119, v185, vcc_lo
	v_lshrrev_b32_e32 v232, 7, v199
	v_mul_u32_u24_e32 v196, 0x1cb, v200
	v_mul_u32_u24_e32 v197, 0x1cb, v205
	;; [unrolled: 1-line block ×3, first 2 shown]
	v_add_co_u32 v118, vcc_lo, v233, v120
	v_mad_u32_u24 v120, 0x561, v194, v190
	v_sub_nc_u32_e32 v201, v191, v196
	v_sub_nc_u32_e32 v206, v192, v197
	;; [unrolled: 1-line block ×3, first 2 shown]
	v_add_co_ci_u32_e32 v119, vcc_lo, 0, v234, vcc_lo
	v_lshlrev_b64 v[192:193], 4, v[120:121]
	v_add_nc_u32_e32 v185, 0x1cb, v120
	v_add_nc_u32_e32 v120, 0x396, v120
	v_mov_b32_e32 v186, v121
	v_add_co_u32 v190, vcc_lo, 0x1800, v118
	v_add_co_ci_u32_e32 v191, vcc_lo, 0, v119, vcc_lo
	v_lshlrev_b64 v[196:197], 4, v[120:121]
	v_mad_u32_u24 v120, 0x561, v200, v201
	v_add_co_u32 v194, vcc_lo, 0x3800, v118
	v_lshlrev_b64 v[184:185], 4, v[185:186]
	v_add_co_ci_u32_e32 v195, vcc_lo, 0, v119, vcc_lo
	v_add_co_u32 v192, vcc_lo, v233, v192
	v_lshlrev_b64 v[199:200], 4, v[120:121]
	v_add_nc_u32_e32 v186, 0x1cb, v120
	v_add_nc_u32_e32 v120, 0x396, v120
	v_mov_b32_e32 v187, v121
	v_add_co_ci_u32_e32 v193, vcc_lo, v234, v193, vcc_lo
	v_add_co_u32 v184, vcc_lo, v233, v184
	v_add_co_ci_u32_e32 v185, vcc_lo, v234, v185, vcc_lo
	v_lshlrev_b64 v[203:204], 4, v[120:121]
	v_mad_u32_u24 v120, 0x561, v205, v206
	v_add_co_u32 v196, vcc_lo, v233, v196
	v_lshlrev_b64 v[201:202], 4, v[186:187]
	v_add_co_ci_u32_e32 v197, vcc_lo, v234, v197, vcc_lo
	v_add_co_u32 v199, vcc_lo, v233, v199
	v_mov_b32_e32 v188, v121
	v_add_nc_u32_e32 v187, 0x1cb, v120
	v_add_co_ci_u32_e32 v200, vcc_lo, v234, v200, vcc_lo
	v_lshlrev_b64 v[205:206], 4, v[120:121]
	v_add_nc_u32_e32 v120, 0x396, v120
	v_add_co_u32 v201, vcc_lo, v233, v201
	v_add_co_ci_u32_e32 v202, vcc_lo, v234, v202, vcc_lo
	v_add_co_u32 v203, vcc_lo, v233, v203
	v_lshlrev_b64 v[186:187], 4, v[187:188]
	v_add_co_ci_u32_e32 v204, vcc_lo, v234, v204, vcc_lo
	v_lshlrev_b64 v[207:208], 4, v[120:121]
	v_mad_u32_u24 v120, 0x561, v209, v210
	v_add_co_u32 v205, vcc_lo, v233, v205
	v_add_co_ci_u32_e32 v206, vcc_lo, v234, v206, vcc_lo
	v_add_co_u32 v186, vcc_lo, v233, v186
	v_mov_b32_e32 v189, v121
	v_add_nc_u32_e32 v188, 0x1cb, v120
	v_add_co_ci_u32_e32 v187, vcc_lo, v234, v187, vcc_lo
	v_lshlrev_b64 v[209:210], 4, v[120:121]
	v_add_co_u32 v207, vcc_lo, v233, v207
	v_add_co_ci_u32_e32 v208, vcc_lo, v234, v208, vcc_lo
	v_lshlrev_b64 v[188:189], 4, v[188:189]
	v_add_nc_u32_e32 v120, 0x396, v120
	s_waitcnt vmcnt(15)
	v_mul_f64 v[215:216], v[48:49], v[70:71]
	v_mul_f64 v[211:212], v[50:51], v[58:59]
	;; [unrolled: 1-line block ×3, first 2 shown]
	s_waitcnt lgkmcnt(8)
	v_mul_f64 v[58:59], v[148:149], v[58:59]
	v_mul_f64 v[54:55], v[182:183], v[54:55]
	s_waitcnt vmcnt(14)
	v_mul_f64 v[217:218], v[46:47], v[74:75]
	v_mul_f64 v[70:71], v[146:147], v[70:71]
	s_waitcnt lgkmcnt(6)
	v_mul_f64 v[74:75], v[156:157], v[74:75]
	s_waitcnt vmcnt(13)
	v_mul_f64 v[219:220], v[42:43], v[62:63]
	s_waitcnt vmcnt(12)
	v_mul_f64 v[221:222], v[44:45], v[66:67]
	s_waitcnt lgkmcnt(5)
	v_mul_f64 v[62:63], v[160:161], v[62:63]
	v_mul_f64 v[66:67], v[154:155], v[66:67]
	s_waitcnt vmcnt(11)
	v_mul_f64 v[223:224], v[40:41], v[86:87]
	s_waitcnt vmcnt(10)
	v_mul_f64 v[225:226], v[38:39], v[90:91]
	v_mul_f64 v[86:87], v[158:159], v[86:87]
	s_waitcnt lgkmcnt(4)
	v_mul_f64 v[90:91], v[164:165], v[90:91]
	s_waitcnt vmcnt(9)
	v_mul_f64 v[227:228], v[34:35], v[78:79]
	s_waitcnt vmcnt(8)
	v_mul_f64 v[229:230], v[36:37], v[82:83]
	v_fma_f64 v[148:149], v[56:57], v[148:149], -v[211:212]
	v_fma_f64 v[50:51], v[50:51], v[56:57], v[58:59]
	s_waitcnt lgkmcnt(3)
	v_mul_f64 v[56:57], v[168:169], v[78:79]
	v_mul_f64 v[58:59], v[162:163], v[82:83]
	v_fma_f64 v[78:79], v[52:53], v[182:183], -v[213:214]
	v_fma_f64 v[52:53], v[108:109], v[52:53], v[54:55]
	s_waitcnt vmcnt(7)
	v_mul_f64 v[54:55], v[32:33], v[102:103]
	v_fma_f64 v[108:109], v[68:69], v[146:147], -v[215:216]
	v_fma_f64 v[146:147], v[72:73], v[156:157], -v[217:218]
	v_fma_f64 v[48:49], v[48:49], v[68:69], v[70:71]
	v_fma_f64 v[46:47], v[46:47], v[72:73], v[74:75]
	s_waitcnt vmcnt(5)
	v_mul_f64 v[68:69], v[26:27], v[94:95]
	s_waitcnt vmcnt(4)
	v_mul_f64 v[70:71], v[28:29], v[98:99]
	s_waitcnt lgkmcnt(1)
	v_mul_f64 v[72:73], v[176:177], v[94:95]
	v_mul_f64 v[74:75], v[170:171], v[98:99]
	v_fma_f64 v[94:95], v[60:61], v[160:161], -v[219:220]
	v_fma_f64 v[98:99], v[64:65], v[154:155], -v[221:222]
	v_fma_f64 v[42:43], v[42:43], v[60:61], v[62:63]
	v_fma_f64 v[44:45], v[44:45], v[64:65], v[66:67]
	s_waitcnt vmcnt(3)
	v_mul_f64 v[60:61], v[24:25], v[112:113]
	s_waitcnt vmcnt(2)
	v_mul_f64 v[62:63], v[22:23], v[116:117]
	v_mul_f64 v[64:65], v[174:175], v[112:113]
	s_waitcnt lgkmcnt(0)
	v_mul_f64 v[66:67], v[180:181], v[116:117]
	v_fma_f64 v[112:113], v[84:85], v[158:159], -v[223:224]
	v_fma_f64 v[116:117], v[88:89], v[164:165], -v[225:226]
	v_fma_f64 v[40:41], v[40:41], v[84:85], v[86:87]
	v_fma_f64 v[38:39], v[38:39], v[88:89], v[90:91]
	s_waitcnt vmcnt(1)
	v_mul_f64 v[84:85], v[18:19], v[124:125]
	s_waitcnt vmcnt(0)
	v_mul_f64 v[86:87], v[20:21], v[128:129]
	v_mul_f64 v[88:89], v[136:137], v[124:125]
	;; [unrolled: 1-line block ×6, first 2 shown]
	v_fma_f64 v[124:125], v[76:77], v[168:169], -v[227:228]
	v_fma_f64 v[128:129], v[80:81], v[162:163], -v[229:230]
	v_fma_f64 v[34:35], v[34:35], v[76:77], v[56:57]
	v_fma_f64 v[36:37], v[36:37], v[80:81], v[58:59]
	v_add_f64 v[58:59], v[50:51], -v[52:53]
	v_add_f64 v[76:77], v[134:135], v[148:149]
	v_add_f64 v[80:81], v[50:51], v[52:53]
	v_add_f64 v[50:51], v[16:17], v[50:51]
	v_fma_f64 v[54:55], v[100:101], v[166:167], -v[54:55]
	v_fma_f64 v[68:69], v[92:93], v[176:177], -v[68:69]
	v_fma_f64 v[70:71], v[96:97], v[170:171], -v[70:71]
	v_fma_f64 v[26:27], v[26:27], v[92:93], v[72:73]
	v_fma_f64 v[72:73], v[28:29], v[96:97], v[74:75]
	v_add_f64 v[74:75], v[42:43], -v[44:45]
	v_add_f64 v[92:93], v[150:151], v[94:95]
	v_fma_f64 v[84:85], v[122:123], v[136:137], -v[84:85]
	v_fma_f64 v[86:87], v[126:127], v[178:179], -v[86:87]
	v_fma_f64 v[88:89], v[18:19], v[122:123], v[88:89]
	v_fma_f64 v[90:91], v[20:21], v[126:127], v[90:91]
	v_fma_f64 v[82:83], v[104:105], v[172:173], -v[82:83]
	v_fma_f64 v[32:33], v[32:33], v[100:101], v[102:103]
	v_fma_f64 v[100:101], v[30:31], v[104:105], v[106:107]
	v_add_f64 v[102:103], v[48:49], -v[46:47]
	v_add_f64 v[104:105], v[152:153], v[108:109]
	v_add_f64 v[106:107], v[48:49], v[46:47]
	;; [unrolled: 1-line block ×5, first 2 shown]
	v_fma_f64 v[60:61], v[110:111], v[174:175], -v[60:61]
	v_fma_f64 v[62:63], v[114:115], v[180:181], -v[62:63]
	v_fma_f64 v[24:25], v[24:25], v[110:111], v[64:65]
	v_fma_f64 v[64:65], v[22:23], v[114:115], v[66:67]
	v_add_f64 v[56:57], v[148:149], v[78:79]
	v_add_f64 v[30:31], v[108:109], v[146:147]
	v_add_f64 v[66:67], v[112:113], v[116:117]
	v_add_f64 v[114:115], v[132:133], v[112:113]
	v_add_f64 v[148:149], v[148:149], -v[78:79]
	v_add_f64 v[28:29], v[94:95], v[98:99]
	v_add_f64 v[110:111], v[40:41], -v[38:39]
	v_add_f64 v[154:155], v[40:41], v[38:39]
	v_add_f64 v[40:41], v[10:11], v[40:41]
	v_add_f64 v[18:19], v[76:77], v[78:79]
	v_fma_f64 v[76:77], v[80:81], -0.5, v[16:17]
	v_add_f64 v[16:17], v[50:51], v[52:53]
	v_add_f64 v[52:53], v[140:141], v[54:55]
	;; [unrolled: 1-line block ×4, first 2 shown]
	v_add_f64 v[94:95], v[94:95], -v[98:99]
	v_add_f64 v[136:137], v[130:131], v[124:125]
	v_add_f64 v[22:23], v[104:105], v[146:147]
	v_fma_f64 v[104:105], v[106:107], -0.5, v[14:15]
	v_add_f64 v[20:21], v[48:49], v[46:47]
	v_add_f64 v[46:47], v[68:69], v[70:71]
	;; [unrolled: 1-line block ×3, first 2 shown]
	v_fma_f64 v[92:93], v[96:97], -0.5, v[12:13]
	v_add_f64 v[12:13], v[42:43], v[44:45]
	v_add_f64 v[42:43], v[60:61], v[62:63]
	v_add_f64 v[98:99], v[24:25], v[64:65]
	v_add_f64 v[108:109], v[108:109], -v[146:147]
	v_add_f64 v[126:127], v[34:35], -v[36:37]
	v_add_f64 v[156:157], v[34:35], v[36:37]
	v_add_f64 v[34:35], v[8:9], v[34:35]
	;; [unrolled: 1-line block ×3, first 2 shown]
	v_add_f64 v[158:159], v[54:55], -v[82:83]
	v_add_f64 v[54:55], v[6:7], v[32:33]
	v_add_f64 v[146:147], v[26:27], v[72:73]
	;; [unrolled: 1-line block ×4, first 2 shown]
	v_add_f64 v[112:113], v[112:113], -v[116:117]
	v_fma_f64 v[56:57], v[56:57], -0.5, v[134:135]
	v_fma_f64 v[80:81], v[30:31], -0.5, v[152:153]
	v_add_f64 v[48:49], v[26:27], -v[72:73]
	v_add_f64 v[106:107], v[138:139], v[68:69]
	v_add_f64 v[152:153], v[68:69], -v[70:71]
	v_add_f64 v[68:69], v[4:5], v[26:27]
	v_fma_f64 v[132:133], v[66:67], -0.5, v[132:133]
	v_add_f64 v[26:27], v[114:115], v[116:117]
	v_add_f64 v[116:117], v[88:89], -v[90:91]
	v_add_f64 v[66:67], v[142:143], v[84:85]
	v_add_f64 v[88:89], v[0:1], v[88:89]
	v_add_f64 v[134:135], v[32:33], -v[100:101]
	v_fma_f64 v[150:151], v[28:29], -0.5, v[150:151]
	v_add_f64 v[44:45], v[24:25], -v[64:65]
	v_add_f64 v[162:163], v[2:3], v[24:25]
	v_add_f64 v[24:25], v[40:41], v[38:39]
	v_add_f64 v[84:85], v[84:85], -v[86:87]
	v_fma_f64 v[28:29], v[148:149], s[6:7], v[76:77]
	v_fma_f64 v[32:33], v[148:149], s[4:5], v[76:77]
	v_fma_f64 v[76:77], v[160:161], -0.5, v[142:143]
	v_add_f64 v[38:39], v[52:53], v[82:83]
	v_fma_f64 v[82:83], v[164:165], -0.5, v[0:1]
	v_add_f64 v[96:97], v[144:145], v[60:61]
	v_add_f64 v[60:61], v[60:61], -v[62:63]
	v_fma_f64 v[114:115], v[154:155], -0.5, v[10:11]
	v_add_f64 v[10:11], v[136:137], v[128:129]
	v_fma_f64 v[136:137], v[46:47], -0.5, v[138:139]
	v_fma_f64 v[138:139], v[42:43], -0.5, v[144:145]
	;; [unrolled: 1-line block ×3, first 2 shown]
	v_add_f64 v[124:125], v[124:125], -v[128:129]
	v_fma_f64 v[128:129], v[156:157], -0.5, v[8:9]
	v_add_f64 v[8:9], v[34:35], v[36:37]
	v_add_f64 v[36:37], v[54:55], v[100:101]
	v_fma_f64 v[100:101], v[146:147], -0.5, v[4:5]
	v_fma_f64 v[122:123], v[122:123], -0.5, v[130:131]
	v_fma_f64 v[130:131], v[50:51], -0.5, v[140:141]
	v_fma_f64 v[140:141], v[78:79], -0.5, v[6:7]
	v_fma_f64 v[30:31], v[58:59], s[4:5], v[56:57]
	v_fma_f64 v[34:35], v[58:59], s[6:7], v[56:57]
	v_add_f64 v[58:59], v[66:67], v[86:87]
	v_add_f64 v[56:57], v[88:89], v[90:91]
	v_fma_f64 v[46:47], v[74:75], s[4:5], v[150:151]
	v_fma_f64 v[50:51], v[74:75], s[6:7], v[150:151]
	;; [unrolled: 1-line block ×5, first 2 shown]
	v_add_f64 v[40:41], v[68:69], v[72:73]
	v_fma_f64 v[72:73], v[84:85], s[6:7], v[82:83]
	v_add_f64 v[54:55], v[96:97], v[62:63]
	v_add_f64 v[52:53], v[162:163], v[64:65]
	v_fma_f64 v[2:3], v[102:103], s[4:5], v[80:81]
	v_fma_f64 v[6:7], v[102:103], s[6:7], v[80:81]
	;; [unrolled: 1-line block ×4, first 2 shown]
	v_add_f64 v[42:43], v[106:107], v[70:71]
	v_fma_f64 v[70:71], v[44:45], s[4:5], v[138:139]
	v_fma_f64 v[68:69], v[60:61], s[6:7], v[98:99]
	;; [unrolled: 1-line block ×14, first 2 shown]
	global_store_dwordx4 v[118:119], v[56:59], off
	global_store_dwordx4 v[190:191], v[76:79], off offset:1200
	global_store_dwordx4 v[194:195], v[72:75], off offset:352
	global_store_dwordx4 v[192:193], v[52:55], off
	global_store_dwordx4 v[184:185], v[80:83], off
	;; [unrolled: 1-line block ×9, first 2 shown]
	v_mul_u32_u24_e32 v40, 0x1cb, v232
	v_add_nc_u32_e32 v43, 0x132, v198
	v_fma_f64 v[102:103], v[126:127], s[4:5], v[122:123]
	v_fma_f64 v[100:101], v[124:125], s[6:7], v[128:129]
	v_add_co_u32 v36, vcc_lo, v233, v209
	v_sub_nc_u32_e32 v42, v231, v40
	v_mul_hi_u32 v52, 0x4763d59d, v43
	v_add_co_ci_u32_e32 v37, vcc_lo, v234, v210, vcc_lo
	v_add_co_u32 v40, vcc_lo, v233, v188
	v_add_co_ci_u32_e32 v41, vcc_lo, v234, v189, vcc_lo
	v_lshlrev_b64 v[38:39], 4, v[120:121]
	v_mad_u32_u24 v120, 0x561, v232, v42
	global_store_dwordx4 v[36:37], v[8:11], off
	global_store_dwordx4 v[40:41], v[104:107], off
	v_lshrrev_b32_e32 v36, 7, v52
	v_mov_b32_e32 v11, v121
	v_fma_f64 v[98:99], v[110:111], s[6:7], v[132:133]
	v_lshlrev_b64 v[8:9], 4, v[120:121]
	v_add_co_u32 v38, vcc_lo, v233, v38
	v_add_co_ci_u32_e32 v39, vcc_lo, v234, v39, vcc_lo
	v_mul_u32_u24_e32 v37, 0x1cb, v36
	v_add_co_u32 v8, vcc_lo, v233, v8
	global_store_dwordx4 v[38:39], v[100:103], off
	v_add_nc_u32_e32 v10, 0x1cb, v120
	v_add_co_ci_u32_e32 v9, vcc_lo, v234, v9, vcc_lo
	v_add_nc_u32_e32 v120, 0x396, v120
	v_sub_nc_u32_e32 v37, v43, v37
	v_add_nc_u32_e32 v38, 0x165, v198
	global_store_dwordx4 v[8:9], v[24:27], off
	v_fma_f64 v[96:97], v[112:113], s[4:5], v[114:115]
	v_lshlrev_b64 v[8:9], 4, v[120:121]
	v_mad_u32_u24 v120, 0x561, v36, v37
	v_mul_hi_u32 v36, 0x4763d59d, v38
	v_fma_f64 v[44:45], v[94:95], s[6:7], v[92:93]
	v_fma_f64 v[48:49], v[94:95], s[4:5], v[92:93]
	;; [unrolled: 1-line block ×4, first 2 shown]
	v_lshlrev_b64 v[10:11], 4, v[10:11]
	v_add_nc_u32_e32 v26, 0x1cb, v120
	v_mov_b32_e32 v27, v121
	v_lshrrev_b32_e32 v39, 7, v36
	v_lshlrev_b64 v[24:25], 4, v[120:121]
	v_add_nc_u32_e32 v40, 0x198, v198
	v_add_co_u32 v10, vcc_lo, v233, v10
	v_mul_u32_u24_e32 v36, 0x1cb, v39
	v_add_co_ci_u32_e32 v11, vcc_lo, v234, v11, vcc_lo
	v_add_co_u32 v8, vcc_lo, v233, v8
	v_lshlrev_b64 v[26:27], 4, v[26:27]
	v_add_co_ci_u32_e32 v9, vcc_lo, v234, v9, vcc_lo
	v_mul_hi_u32 v41, 0x4763d59d, v40
	v_add_co_u32 v24, vcc_lo, v233, v24
	v_add_nc_u32_e32 v120, 0x396, v120
	v_sub_nc_u32_e32 v38, v38, v36
	v_add_co_ci_u32_e32 v25, vcc_lo, v234, v25, vcc_lo
	v_add_co_u32 v26, vcc_lo, v233, v26
	v_add_co_ci_u32_e32 v27, vcc_lo, v234, v27, vcc_lo
	v_lshlrev_b64 v[36:37], 4, v[120:121]
	v_mad_u32_u24 v120, 0x561, v39, v38
	global_store_dwordx4 v[10:11], v[96:99], off
	global_store_dwordx4 v[8:9], v[92:95], off
	;; [unrolled: 1-line block ×4, first 2 shown]
	v_lshrrev_b32_e32 v14, 7, v41
	v_mov_b32_e32 v13, v121
	v_lshlrev_b64 v[8:9], 4, v[120:121]
	v_add_co_u32 v10, vcc_lo, v233, v36
	v_mul_u32_u24_e32 v15, 0x1cb, v14
	v_add_co_ci_u32_e32 v11, vcc_lo, v234, v37, vcc_lo
	v_add_nc_u32_e32 v12, 0x1cb, v120
	v_add_co_u32 v8, vcc_lo, v233, v8
	v_add_nc_u32_e32 v120, 0x396, v120
	v_sub_nc_u32_e32 v15, v40, v15
	v_add_co_ci_u32_e32 v9, vcc_lo, v234, v9, vcc_lo
	v_lshlrev_b64 v[12:13], 4, v[12:13]
	global_store_dwordx4 v[10:11], v[44:47], off
	global_store_dwordx4 v[8:9], v[20:23], off
	v_lshlrev_b64 v[8:9], 4, v[120:121]
	v_mad_u32_u24 v120, 0x561, v14, v15
	v_mov_b32_e32 v15, v121
	v_add_co_u32 v10, vcc_lo, v233, v12
	v_add_co_ci_u32_e32 v11, vcc_lo, v234, v13, vcc_lo
	v_add_nc_u32_e32 v14, 0x1cb, v120
	v_lshlrev_b64 v[12:13], 4, v[120:121]
	v_add_nc_u32_e32 v120, 0x396, v120
	v_add_co_u32 v8, vcc_lo, v233, v8
	v_lshlrev_b64 v[14:15], 4, v[14:15]
	v_add_co_ci_u32_e32 v9, vcc_lo, v234, v9, vcc_lo
	v_add_co_u32 v12, vcc_lo, v233, v12
	v_lshlrev_b64 v[20:21], 4, v[120:121]
	v_add_co_ci_u32_e32 v13, vcc_lo, v234, v13, vcc_lo
	v_add_co_u32 v14, vcc_lo, v233, v14
	v_add_co_ci_u32_e32 v15, vcc_lo, v234, v15, vcc_lo
	v_add_co_u32 v20, vcc_lo, v233, v20
	v_add_co_ci_u32_e32 v21, vcc_lo, v234, v21, vcc_lo
	global_store_dwordx4 v[10:11], v[4:7], off
	global_store_dwordx4 v[8:9], v[0:3], off
	;; [unrolled: 1-line block ×5, first 2 shown]
.LBB0_21:
	s_endpgm
	.section	.rodata,"a",@progbits
	.p2align	6, 0x0
	.amdhsa_kernel fft_rtc_back_len1377_factors_17_3_9_3_wgs_51_tpt_51_halfLds_dp_op_CI_CI_unitstride_sbrr_dirReg
		.amdhsa_group_segment_fixed_size 0
		.amdhsa_private_segment_fixed_size 20
		.amdhsa_kernarg_size 104
		.amdhsa_user_sgpr_count 6
		.amdhsa_user_sgpr_private_segment_buffer 1
		.amdhsa_user_sgpr_dispatch_ptr 0
		.amdhsa_user_sgpr_queue_ptr 0
		.amdhsa_user_sgpr_kernarg_segment_ptr 1
		.amdhsa_user_sgpr_dispatch_id 0
		.amdhsa_user_sgpr_flat_scratch_init 0
		.amdhsa_user_sgpr_private_segment_size 0
		.amdhsa_wavefront_size32 1
		.amdhsa_uses_dynamic_stack 0
		.amdhsa_system_sgpr_private_segment_wavefront_offset 1
		.amdhsa_system_sgpr_workgroup_id_x 1
		.amdhsa_system_sgpr_workgroup_id_y 0
		.amdhsa_system_sgpr_workgroup_id_z 0
		.amdhsa_system_sgpr_workgroup_info 0
		.amdhsa_system_vgpr_workitem_id 0
		.amdhsa_next_free_vgpr 255
		.amdhsa_next_free_sgpr 64
		.amdhsa_reserve_vcc 1
		.amdhsa_reserve_flat_scratch 0
		.amdhsa_float_round_mode_32 0
		.amdhsa_float_round_mode_16_64 0
		.amdhsa_float_denorm_mode_32 3
		.amdhsa_float_denorm_mode_16_64 3
		.amdhsa_dx10_clamp 1
		.amdhsa_ieee_mode 1
		.amdhsa_fp16_overflow 0
		.amdhsa_workgroup_processor_mode 1
		.amdhsa_memory_ordered 1
		.amdhsa_forward_progress 0
		.amdhsa_shared_vgpr_count 0
		.amdhsa_exception_fp_ieee_invalid_op 0
		.amdhsa_exception_fp_denorm_src 0
		.amdhsa_exception_fp_ieee_div_zero 0
		.amdhsa_exception_fp_ieee_overflow 0
		.amdhsa_exception_fp_ieee_underflow 0
		.amdhsa_exception_fp_ieee_inexact 0
		.amdhsa_exception_int_div_zero 0
	.end_amdhsa_kernel
	.text
.Lfunc_end0:
	.size	fft_rtc_back_len1377_factors_17_3_9_3_wgs_51_tpt_51_halfLds_dp_op_CI_CI_unitstride_sbrr_dirReg, .Lfunc_end0-fft_rtc_back_len1377_factors_17_3_9_3_wgs_51_tpt_51_halfLds_dp_op_CI_CI_unitstride_sbrr_dirReg
                                        ; -- End function
	.section	.AMDGPU.csdata,"",@progbits
; Kernel info:
; codeLenInByte = 25668
; NumSgprs: 66
; NumVgprs: 255
; ScratchSize: 20
; MemoryBound: 1
; FloatMode: 240
; IeeeMode: 1
; LDSByteSize: 0 bytes/workgroup (compile time only)
; SGPRBlocks: 8
; VGPRBlocks: 31
; NumSGPRsForWavesPerEU: 66
; NumVGPRsForWavesPerEU: 255
; Occupancy: 4
; WaveLimiterHint : 1
; COMPUTE_PGM_RSRC2:SCRATCH_EN: 1
; COMPUTE_PGM_RSRC2:USER_SGPR: 6
; COMPUTE_PGM_RSRC2:TRAP_HANDLER: 0
; COMPUTE_PGM_RSRC2:TGID_X_EN: 1
; COMPUTE_PGM_RSRC2:TGID_Y_EN: 0
; COMPUTE_PGM_RSRC2:TGID_Z_EN: 0
; COMPUTE_PGM_RSRC2:TIDIG_COMP_CNT: 0
	.text
	.p2alignl 6, 3214868480
	.fill 48, 4, 3214868480
	.type	__hip_cuid_4d49812b199aeb0,@object ; @__hip_cuid_4d49812b199aeb0
	.section	.bss,"aw",@nobits
	.globl	__hip_cuid_4d49812b199aeb0
__hip_cuid_4d49812b199aeb0:
	.byte	0                               ; 0x0
	.size	__hip_cuid_4d49812b199aeb0, 1

	.ident	"AMD clang version 19.0.0git (https://github.com/RadeonOpenCompute/llvm-project roc-6.4.0 25133 c7fe45cf4b819c5991fe208aaa96edf142730f1d)"
	.section	".note.GNU-stack","",@progbits
	.addrsig
	.addrsig_sym __hip_cuid_4d49812b199aeb0
	.amdgpu_metadata
---
amdhsa.kernels:
  - .args:
      - .actual_access:  read_only
        .address_space:  global
        .offset:         0
        .size:           8
        .value_kind:     global_buffer
      - .offset:         8
        .size:           8
        .value_kind:     by_value
      - .actual_access:  read_only
        .address_space:  global
        .offset:         16
        .size:           8
        .value_kind:     global_buffer
      - .actual_access:  read_only
        .address_space:  global
        .offset:         24
        .size:           8
        .value_kind:     global_buffer
      - .actual_access:  read_only
        .address_space:  global
        .offset:         32
        .size:           8
        .value_kind:     global_buffer
      - .offset:         40
        .size:           8
        .value_kind:     by_value
      - .actual_access:  read_only
        .address_space:  global
        .offset:         48
        .size:           8
        .value_kind:     global_buffer
      - .actual_access:  read_only
        .address_space:  global
        .offset:         56
        .size:           8
        .value_kind:     global_buffer
      - .offset:         64
        .size:           4
        .value_kind:     by_value
      - .actual_access:  read_only
        .address_space:  global
        .offset:         72
        .size:           8
        .value_kind:     global_buffer
      - .actual_access:  read_only
        .address_space:  global
        .offset:         80
        .size:           8
        .value_kind:     global_buffer
      - .actual_access:  read_only
        .address_space:  global
        .offset:         88
        .size:           8
        .value_kind:     global_buffer
      - .actual_access:  write_only
        .address_space:  global
        .offset:         96
        .size:           8
        .value_kind:     global_buffer
    .group_segment_fixed_size: 0
    .kernarg_segment_align: 8
    .kernarg_segment_size: 104
    .language:       OpenCL C
    .language_version:
      - 2
      - 0
    .max_flat_workgroup_size: 51
    .name:           fft_rtc_back_len1377_factors_17_3_9_3_wgs_51_tpt_51_halfLds_dp_op_CI_CI_unitstride_sbrr_dirReg
    .private_segment_fixed_size: 20
    .sgpr_count:     66
    .sgpr_spill_count: 0
    .symbol:         fft_rtc_back_len1377_factors_17_3_9_3_wgs_51_tpt_51_halfLds_dp_op_CI_CI_unitstride_sbrr_dirReg.kd
    .uniform_work_group_size: 1
    .uses_dynamic_stack: false
    .vgpr_count:     255
    .vgpr_spill_count: 12
    .wavefront_size: 32
    .workgroup_processor_mode: 1
amdhsa.target:   amdgcn-amd-amdhsa--gfx1030
amdhsa.version:
  - 1
  - 2
...

	.end_amdgpu_metadata
